;; amdgpu-corpus repo=ROCm/rocFFT kind=compiled arch=gfx1030 opt=O3
	.text
	.amdgcn_target "amdgcn-amd-amdhsa--gfx1030"
	.amdhsa_code_object_version 6
	.protected	fft_rtc_back_len1512_factors_2_2_2_3_3_3_7_wgs_63_tpt_63_halfLds_sp_ip_CI_unitstride_sbrr_dirReg ; -- Begin function fft_rtc_back_len1512_factors_2_2_2_3_3_3_7_wgs_63_tpt_63_halfLds_sp_ip_CI_unitstride_sbrr_dirReg
	.globl	fft_rtc_back_len1512_factors_2_2_2_3_3_3_7_wgs_63_tpt_63_halfLds_sp_ip_CI_unitstride_sbrr_dirReg
	.p2align	8
	.type	fft_rtc_back_len1512_factors_2_2_2_3_3_3_7_wgs_63_tpt_63_halfLds_sp_ip_CI_unitstride_sbrr_dirReg,@function
fft_rtc_back_len1512_factors_2_2_2_3_3_3_7_wgs_63_tpt_63_halfLds_sp_ip_CI_unitstride_sbrr_dirReg: ; @fft_rtc_back_len1512_factors_2_2_2_3_3_3_7_wgs_63_tpt_63_halfLds_sp_ip_CI_unitstride_sbrr_dirReg
; %bb.0:
	s_clause 0x2
	s_load_dwordx4 s[8:11], s[4:5], 0x0
	s_load_dwordx2 s[2:3], s[4:5], 0x50
	s_load_dwordx2 s[12:13], s[4:5], 0x18
	v_mul_u32_u24_e32 v1, 0x411, v0
	v_mov_b32_e32 v3, 0
	v_add_nc_u32_sdwa v5, s6, v1 dst_sel:DWORD dst_unused:UNUSED_PAD src0_sel:DWORD src1_sel:WORD_1
	v_mov_b32_e32 v1, 0
	v_mov_b32_e32 v6, v3
	v_mov_b32_e32 v2, 0
	s_waitcnt lgkmcnt(0)
	v_cmp_lt_u64_e64 s0, s[10:11], 2
	s_and_b32 vcc_lo, exec_lo, s0
	s_cbranch_vccnz .LBB0_8
; %bb.1:
	s_load_dwordx2 s[0:1], s[4:5], 0x10
	v_mov_b32_e32 v1, 0
	s_add_u32 s6, s12, 8
	v_mov_b32_e32 v2, 0
	s_addc_u32 s7, s13, 0
	s_mov_b64 s[16:17], 1
	s_waitcnt lgkmcnt(0)
	s_add_u32 s14, s0, 8
	s_addc_u32 s15, s1, 0
.LBB0_2:                                ; =>This Inner Loop Header: Depth=1
	s_load_dwordx2 s[18:19], s[14:15], 0x0
                                        ; implicit-def: $vgpr7_vgpr8
	s_mov_b32 s0, exec_lo
	s_waitcnt lgkmcnt(0)
	v_or_b32_e32 v4, s19, v6
	v_cmpx_ne_u64_e32 0, v[3:4]
	s_xor_b32 s1, exec_lo, s0
	s_cbranch_execz .LBB0_4
; %bb.3:                                ;   in Loop: Header=BB0_2 Depth=1
	v_cvt_f32_u32_e32 v4, s18
	v_cvt_f32_u32_e32 v7, s19
	s_sub_u32 s0, 0, s18
	s_subb_u32 s20, 0, s19
	v_fmac_f32_e32 v4, 0x4f800000, v7
	v_rcp_f32_e32 v4, v4
	v_mul_f32_e32 v4, 0x5f7ffffc, v4
	v_mul_f32_e32 v7, 0x2f800000, v4
	v_trunc_f32_e32 v7, v7
	v_fmac_f32_e32 v4, 0xcf800000, v7
	v_cvt_u32_f32_e32 v7, v7
	v_cvt_u32_f32_e32 v4, v4
	v_mul_lo_u32 v8, s0, v7
	v_mul_hi_u32 v9, s0, v4
	v_mul_lo_u32 v10, s20, v4
	v_add_nc_u32_e32 v8, v9, v8
	v_mul_lo_u32 v9, s0, v4
	v_add_nc_u32_e32 v8, v8, v10
	v_mul_hi_u32 v10, v4, v9
	v_mul_lo_u32 v11, v4, v8
	v_mul_hi_u32 v12, v4, v8
	v_mul_hi_u32 v13, v7, v9
	v_mul_lo_u32 v9, v7, v9
	v_mul_hi_u32 v14, v7, v8
	v_mul_lo_u32 v8, v7, v8
	v_add_co_u32 v10, vcc_lo, v10, v11
	v_add_co_ci_u32_e32 v11, vcc_lo, 0, v12, vcc_lo
	v_add_co_u32 v9, vcc_lo, v10, v9
	v_add_co_ci_u32_e32 v9, vcc_lo, v11, v13, vcc_lo
	v_add_co_ci_u32_e32 v10, vcc_lo, 0, v14, vcc_lo
	v_add_co_u32 v8, vcc_lo, v9, v8
	v_add_co_ci_u32_e32 v9, vcc_lo, 0, v10, vcc_lo
	v_add_co_u32 v4, vcc_lo, v4, v8
	v_add_co_ci_u32_e32 v7, vcc_lo, v7, v9, vcc_lo
	v_mul_hi_u32 v8, s0, v4
	v_mul_lo_u32 v10, s20, v4
	v_mul_lo_u32 v9, s0, v7
	v_add_nc_u32_e32 v8, v8, v9
	v_mul_lo_u32 v9, s0, v4
	v_add_nc_u32_e32 v8, v8, v10
	v_mul_hi_u32 v10, v4, v9
	v_mul_lo_u32 v11, v4, v8
	v_mul_hi_u32 v12, v4, v8
	v_mul_hi_u32 v13, v7, v9
	v_mul_lo_u32 v9, v7, v9
	v_mul_hi_u32 v14, v7, v8
	v_mul_lo_u32 v8, v7, v8
	v_add_co_u32 v10, vcc_lo, v10, v11
	v_add_co_ci_u32_e32 v11, vcc_lo, 0, v12, vcc_lo
	v_add_co_u32 v9, vcc_lo, v10, v9
	v_add_co_ci_u32_e32 v9, vcc_lo, v11, v13, vcc_lo
	v_add_co_ci_u32_e32 v10, vcc_lo, 0, v14, vcc_lo
	v_add_co_u32 v8, vcc_lo, v9, v8
	v_add_co_ci_u32_e32 v9, vcc_lo, 0, v10, vcc_lo
	v_add_co_u32 v4, vcc_lo, v4, v8
	v_add_co_ci_u32_e32 v11, vcc_lo, v7, v9, vcc_lo
	v_mul_hi_u32 v13, v5, v4
	v_mad_u64_u32 v[9:10], null, v6, v4, 0
	v_mad_u64_u32 v[7:8], null, v5, v11, 0
	;; [unrolled: 1-line block ×3, first 2 shown]
	v_add_co_u32 v4, vcc_lo, v13, v7
	v_add_co_ci_u32_e32 v7, vcc_lo, 0, v8, vcc_lo
	v_add_co_u32 v4, vcc_lo, v4, v9
	v_add_co_ci_u32_e32 v4, vcc_lo, v7, v10, vcc_lo
	v_add_co_ci_u32_e32 v7, vcc_lo, 0, v12, vcc_lo
	v_add_co_u32 v4, vcc_lo, v4, v11
	v_add_co_ci_u32_e32 v9, vcc_lo, 0, v7, vcc_lo
	v_mul_lo_u32 v10, s19, v4
	v_mad_u64_u32 v[7:8], null, s18, v4, 0
	v_mul_lo_u32 v11, s18, v9
	v_sub_co_u32 v7, vcc_lo, v5, v7
	v_add3_u32 v8, v8, v11, v10
	v_sub_nc_u32_e32 v10, v6, v8
	v_subrev_co_ci_u32_e64 v10, s0, s19, v10, vcc_lo
	v_add_co_u32 v11, s0, v4, 2
	v_add_co_ci_u32_e64 v12, s0, 0, v9, s0
	v_sub_co_u32 v13, s0, v7, s18
	v_sub_co_ci_u32_e32 v8, vcc_lo, v6, v8, vcc_lo
	v_subrev_co_ci_u32_e64 v10, s0, 0, v10, s0
	v_cmp_le_u32_e32 vcc_lo, s18, v13
	v_cmp_eq_u32_e64 s0, s19, v8
	v_cndmask_b32_e64 v13, 0, -1, vcc_lo
	v_cmp_le_u32_e32 vcc_lo, s19, v10
	v_cndmask_b32_e64 v14, 0, -1, vcc_lo
	v_cmp_le_u32_e32 vcc_lo, s18, v7
	;; [unrolled: 2-line block ×3, first 2 shown]
	v_cndmask_b32_e64 v15, 0, -1, vcc_lo
	v_cmp_eq_u32_e32 vcc_lo, s19, v10
	v_cndmask_b32_e64 v7, v15, v7, s0
	v_cndmask_b32_e32 v10, v14, v13, vcc_lo
	v_add_co_u32 v13, vcc_lo, v4, 1
	v_add_co_ci_u32_e32 v14, vcc_lo, 0, v9, vcc_lo
	v_cmp_ne_u32_e32 vcc_lo, 0, v10
	v_cndmask_b32_e32 v8, v14, v12, vcc_lo
	v_cndmask_b32_e32 v10, v13, v11, vcc_lo
	v_cmp_ne_u32_e32 vcc_lo, 0, v7
	v_cndmask_b32_e32 v8, v9, v8, vcc_lo
	v_cndmask_b32_e32 v7, v4, v10, vcc_lo
.LBB0_4:                                ;   in Loop: Header=BB0_2 Depth=1
	s_andn2_saveexec_b32 s0, s1
	s_cbranch_execz .LBB0_6
; %bb.5:                                ;   in Loop: Header=BB0_2 Depth=1
	v_cvt_f32_u32_e32 v4, s18
	s_sub_i32 s1, 0, s18
	v_rcp_iflag_f32_e32 v4, v4
	v_mul_f32_e32 v4, 0x4f7ffffe, v4
	v_cvt_u32_f32_e32 v4, v4
	v_mul_lo_u32 v7, s1, v4
	v_mul_hi_u32 v7, v4, v7
	v_add_nc_u32_e32 v4, v4, v7
	v_mul_hi_u32 v4, v5, v4
	v_mul_lo_u32 v7, v4, s18
	v_add_nc_u32_e32 v8, 1, v4
	v_sub_nc_u32_e32 v7, v5, v7
	v_subrev_nc_u32_e32 v9, s18, v7
	v_cmp_le_u32_e32 vcc_lo, s18, v7
	v_cndmask_b32_e32 v7, v7, v9, vcc_lo
	v_cndmask_b32_e32 v4, v4, v8, vcc_lo
	v_cmp_le_u32_e32 vcc_lo, s18, v7
	v_add_nc_u32_e32 v8, 1, v4
	v_cndmask_b32_e32 v7, v4, v8, vcc_lo
	v_mov_b32_e32 v8, v3
.LBB0_6:                                ;   in Loop: Header=BB0_2 Depth=1
	s_or_b32 exec_lo, exec_lo, s0
	s_load_dwordx2 s[0:1], s[6:7], 0x0
	v_mul_lo_u32 v4, v8, s18
	v_mul_lo_u32 v11, v7, s19
	v_mad_u64_u32 v[9:10], null, v7, s18, 0
	s_add_u32 s16, s16, 1
	s_addc_u32 s17, s17, 0
	s_add_u32 s6, s6, 8
	s_addc_u32 s7, s7, 0
	;; [unrolled: 2-line block ×3, first 2 shown]
	v_add3_u32 v4, v10, v11, v4
	v_sub_co_u32 v5, vcc_lo, v5, v9
	v_sub_co_ci_u32_e32 v4, vcc_lo, v6, v4, vcc_lo
	s_waitcnt lgkmcnt(0)
	v_mul_lo_u32 v6, s1, v5
	v_mul_lo_u32 v4, s0, v4
	v_mad_u64_u32 v[1:2], null, s0, v5, v[1:2]
	v_cmp_ge_u64_e64 s0, s[16:17], s[10:11]
	s_and_b32 vcc_lo, exec_lo, s0
	v_add3_u32 v2, v6, v2, v4
	s_cbranch_vccnz .LBB0_9
; %bb.7:                                ;   in Loop: Header=BB0_2 Depth=1
	v_mov_b32_e32 v5, v7
	v_mov_b32_e32 v6, v8
	s_branch .LBB0_2
.LBB0_8:
	v_mov_b32_e32 v8, v6
	v_mov_b32_e32 v7, v5
.LBB0_9:
	s_lshl_b64 s[0:1], s[10:11], 3
	s_load_dwordx2 s[4:5], s[4:5], 0x20
	s_add_u32 s0, s12, s0
	s_addc_u32 s1, s13, s1
	v_mul_hi_u32 v5, 0x4104105, v0
	s_load_dwordx2 s[0:1], s[0:1], 0x0
	v_mov_b32_e32 v3, 0
	v_mov_b32_e32 v4, 0
                                        ; implicit-def: $vgpr45
                                        ; implicit-def: $vgpr51
                                        ; implicit-def: $vgpr63
                                        ; implicit-def: $vgpr47
                                        ; implicit-def: $vgpr55
                                        ; implicit-def: $vgpr53
                                        ; implicit-def: $vgpr61
                                        ; implicit-def: $vgpr65
                                        ; implicit-def: $vgpr59
                                        ; implicit-def: $vgpr57
                                        ; implicit-def: $vgpr10
	v_mul_u32_u24_e32 v5, 63, v5
	v_mov_b32_e32 v24, v4
	v_mov_b32_e32 v28, v4
	;; [unrolled: 1-line block ×9, first 2 shown]
	s_waitcnt lgkmcnt(0)
	v_cmp_gt_u64_e32 vcc_lo, s[4:5], v[7:8]
	v_mov_b32_e32 v43, v4
	v_mov_b32_e32 v22, v4
	v_mul_lo_u32 v6, s0, v8
	v_mul_lo_u32 v9, s1, v7
	v_mad_u64_u32 v[1:2], null, s0, v7, v[1:2]
	v_mov_b32_e32 v23, v3
	v_mov_b32_e32 v27, v3
	;; [unrolled: 1-line block ×6, first 2 shown]
	v_add3_u32 v2, v9, v2, v6
	v_mov_b32_e32 v33, v3
	v_mov_b32_e32 v25, v3
	;; [unrolled: 1-line block ×3, first 2 shown]
	v_sub_nc_u32_e32 v36, v0, v5
	v_lshlrev_b64 v[38:39], 3, v[1:2]
	v_mov_b32_e32 v42, v3
	v_mov_b32_e32 v21, v3
                                        ; implicit-def: $vgpr1
	s_and_saveexec_b32 s1, vcc_lo
	s_cbranch_execz .LBB0_11
; %bb.10:
	v_mov_b32_e32 v37, 0
	v_add_co_u32 v2, s0, s2, v38
	v_add_co_ci_u32_e64 v3, s0, s3, v39, s0
	v_lshlrev_b64 v[0:1], 3, v[36:37]
	v_add_co_u32 v5, s0, v2, v0
	v_add_co_ci_u32_e64 v6, s0, v3, v1, s0
	v_add_co_u32 v7, s0, 0x1000, v5
	v_add_co_ci_u32_e64 v8, s0, 0, v6, s0
	;; [unrolled: 2-line block ×5, first 2 shown]
	s_clause 0xf
	global_load_dwordx2 v[3:4], v[5:6], off
	global_load_dwordx2 v[23:24], v[5:6], off offset:504
	global_load_dwordx2 v[27:28], v[5:6], off offset:1008
	;; [unrolled: 1-line block ×15, first 2 shown]
	v_add_co_u32 v11, s0, 0x2800, v5
	v_add_co_ci_u32_e64 v12, s0, 0, v6, s0
	s_clause 0x7
	global_load_dwordx2 v[48:49], v[5:6], off offset:2016
	global_load_dwordx2 v[40:41], v[7:8], off offset:440
	;; [unrolled: 1-line block ×8, first 2 shown]
.LBB0_11:
	s_or_b32 exec_lo, exec_lo, s1
	s_waitcnt vmcnt(19)
	v_sub_f32_e32 v2, v3, v0
	v_sub_f32_e32 v73, v4, v1
	s_waitcnt vmcnt(18)
	v_sub_f32_e32 v5, v23, v9
	v_add_nc_u32_e32 v71, 63, v36
	v_lshl_add_u32 v35, v36, 3, 0
	v_fma_f32 v1, v3, 2.0, -v2
	s_waitcnt vmcnt(17)
	v_sub_f32_e32 v7, v27, v56
	v_add_nc_u32_e32 v37, 0x7e, v36
	v_fma_f32 v72, v4, 2.0, -v73
	v_fma_f32 v4, v23, 2.0, -v5
	s_waitcnt vmcnt(16)
	v_sub_f32_e32 v3, v19, v44
	v_lshl_add_u32 v44, v71, 3, 0
	v_add_nc_u32_e32 v108, 0xbd, v36
	ds_write_b64 v35, v[1:2]
	s_waitcnt vmcnt(7)
	v_sub_f32_e32 v1, v48, v50
	v_add_nc_u32_e32 v67, 0xfc, v36
	v_fma_f32 v6, v27, 2.0, -v7
	v_lshl_add_u32 v56, v37, 3, 0
	v_fma_f32 v2, v19, 2.0, -v3
	ds_write_b64 v44, v[4:5]
	v_lshl_add_u32 v50, v108, 3, 0
	v_sub_f32_e32 v4, v29, v62
	v_add_nc_u32_e32 v68, 0x13b, v36
	v_fma_f32 v0, v48, 2.0, -v1
	v_lshl_add_u32 v48, v67, 3, 0
	ds_write_b64 v56, v[6:7]
	ds_write_b64 v50, v[2:3]
	;; [unrolled: 1-line block ×3, first 2 shown]
	v_sub_f32_e32 v1, v31, v58
	v_add_nc_u32_e32 v69, 0x17a, v36
	v_fma_f32 v3, v29, 2.0, -v4
	v_lshl_add_u32 v78, v68, 3, 0
	v_sub_f32_e32 v5, v33, v46
	v_add_nc_u32_e32 v70, 0x1b9, v36
	v_fma_f32 v0, v31, 2.0, -v1
	v_lshl_add_u32 v46, v69, 3, 0
	s_waitcnt vmcnt(3)
	v_sub_f32_e32 v2, v25, v64
	ds_write_b64 v78, v[3:4]
	v_fma_f32 v4, v33, 2.0, -v5
	v_lshl_add_u32 v79, v70, 3, 0
	v_add_nc_u32_e32 v80, 0x1f8, v36
	ds_write_b64 v46, v[0:1]
	ds_write_b64 v79, v[4:5]
	v_fma_f32 v1, v25, 2.0, -v2
	s_waitcnt vmcnt(0)
	v_sub_f32_e32 v8, v21, v52
	v_add_nc_u32_e32 v25, 0x2b5, v36
	v_lshl_add_u32 v92, v36, 2, 0
	v_sub_f32_e32 v29, v28, v57
	v_sub_f32_e32 v6, v40, v60
	v_add_nc_u32_e32 v27, 0x237, v36
	v_sub_f32_e32 v4, v42, v54
	v_add_nc_u32_e32 v23, 0x276, v36
	v_lshl_add_u32 v60, v80, 3, 0
	v_fma_f32 v7, v21, 2.0, -v8
	v_lshl_add_u32 v52, v25, 3, 0
	v_add_nc_u32_e32 v83, 0x800, v92
	v_sub_f32_e32 v58, v24, v10
	v_fma_f32 v28, v28, 2.0, -v29
	v_fma_f32 v5, v40, 2.0, -v6
	v_lshl_add_u32 v40, v27, 3, 0
	v_add_nc_u32_e32 v84, 0xa00, v92
	v_add_nc_u32_e32 v87, 0x1400, v92
	v_fma_f32 v3, v42, 2.0, -v4
	v_lshl_add_u32 v42, v23, 3, 0
	v_add_nc_u32_e32 v82, 0xc00, v92
	v_add_nc_u32_e32 v62, 0x200, v92
	v_sub_f32_e32 v21, v20, v45
	ds_write_b64 v60, v[1:2]
	ds_write_b64 v40, v[5:6]
	;; [unrolled: 1-line block ×4, first 2 shown]
	s_waitcnt lgkmcnt(0)
	s_barrier
	buffer_gl0_inv
	v_add_nc_u32_e32 v86, 0xe00, v92
	v_add_nc_u32_e32 v85, 0x400, v92
	;; [unrolled: 1-line block ×5, first 2 shown]
	ds_read2_b32 v[0:1], v92 offset1:63
	ds_read2_b32 v[74:75], v84 offset0:116 offset1:179
	ds_read2_b32 v[2:3], v92 offset0:126 offset1:189
	;; [unrolled: 1-line block ×11, first 2 shown]
	s_waitcnt lgkmcnt(0)
	v_fma_f32 v57, v24, 2.0, -v58
	s_barrier
	buffer_gl0_inv
	v_sub_f32_e32 v45, v49, v51
	ds_write_b64 v56, v[28:29]
	v_sub_f32_e32 v29, v32, v59
	v_sub_f32_e32 v31, v30, v63
	v_fma_f32 v20, v20, 2.0, -v21
	v_sub_f32_e32 v33, v34, v47
	ds_write_b64 v44, v[57:58]
	v_fma_f32 v44, v49, 2.0, -v45
	v_fma_f32 v28, v32, 2.0, -v29
	v_fma_f32 v30, v30, 2.0, -v31
	ds_write_b64 v35, v[72:73]
	ds_write_b64 v50, v[20:21]
	;; [unrolled: 1-line block ×4, first 2 shown]
	v_fma_f32 v32, v34, 2.0, -v33
	v_sub_f32_e32 v21, v26, v65
	ds_write_b64 v46, v[28:29]
	v_sub_f32_e32 v29, v41, v61
	v_sub_f32_e32 v31, v43, v55
	ds_write_b64 v79, v[32:33]
	v_sub_f32_e32 v33, v22, v53
	v_fma_f32 v20, v26, 2.0, -v21
	v_and_b32_e32 v35, 1, v71
	v_fma_f32 v28, v41, 2.0, -v29
	v_and_b32_e32 v63, 1, v108
	;; [unrolled: 2-line block ×3, first 2 shown]
	v_and_b32_e32 v98, 1, v36
	v_fma_f32 v32, v22, 2.0, -v33
	ds_write_b64 v60, v[20:21]
	ds_write_b64 v40, v[28:29]
	;; [unrolled: 1-line block ×3, first 2 shown]
	v_lshlrev_b32_e32 v20, 3, v35
	v_lshlrev_b32_e32 v21, 3, v63
	;; [unrolled: 1-line block ×4, first 2 shown]
	ds_write_b64 v52, v[32:33]
	s_waitcnt lgkmcnt(0)
	s_barrier
	buffer_gl0_inv
	s_clause 0x3
	global_load_dwordx2 v[42:43], v20, s[8:9]
	global_load_dwordx2 v[44:45], v21, s[8:9]
	;; [unrolled: 1-line block ×4, first 2 shown]
	v_and_b32_e32 v99, 1, v70
	v_and_b32_e32 v100, 1, v27
	;; [unrolled: 1-line block ×3, first 2 shown]
	ds_read2_b32 v[56:57], v84 offset0:116 offset1:179
	ds_read2_b32 v[58:59], v82 offset0:114 offset1:177
	v_lshlrev_b32_e32 v20, 3, v99
	v_lshlrev_b32_e32 v30, 1, v80
	;; [unrolled: 1-line block ×5, first 2 shown]
	global_load_dwordx2 v[50:51], v20, s[8:9]
	v_lshlrev_b32_e32 v20, 3, v100
	v_and_or_b32 v88, 0x7c, v32, v98
	v_lshlrev_b32_e32 v31, 1, v27
	v_lshlrev_b32_e32 v34, 1, v25
	;; [unrolled: 1-line block ×3, first 2 shown]
	global_load_dwordx2 v[52:53], v20, s[8:9]
	v_lshlrev_b32_e32 v20, 3, v101
	v_lshl_add_u32 v102, v88, 2, 0
	v_and_or_b32 v100, 0x4fc, v31, v100
	v_lshlrev_b32_e32 v24, 1, v67
	v_lshlrev_b32_e32 v26, 1, v68
	global_load_dwordx2 v[54:55], v20, s[8:9]
	ds_read2_b32 v[60:61], v86 offset0:112 offset1:175
	ds_read2_b32 v[72:73], v93 offset0:110 offset1:173
	;; [unrolled: 1-line block ×4, first 2 shown]
	ds_read2_b32 v[88:89], v92 offset1:63
	ds_read2_b32 v[90:91], v92 offset0:126 offset1:189
	ds_read2_b32 v[94:95], v62 offset0:124 offset1:187
	;; [unrolled: 1-line block ×3, first 2 shown]
	v_lshlrev_b32_e32 v20, 1, v71
	v_lshlrev_b32_e32 v29, 1, v70
	;; [unrolled: 1-line block ×3, first 2 shown]
	v_and_or_b32 v101, 0x5fc, v34, v101
	v_and_or_b32 v63, 0x1fc, v22, v63
	;; [unrolled: 1-line block ×3, first 2 shown]
	v_and_b32_e32 v40, 3, v37
	v_and_b32_e32 v41, 3, v108
	;; [unrolled: 1-line block ×3, first 2 shown]
	v_lshl_add_u32 v63, v63, 2, 0
	v_lshl_add_u32 v35, v35, 2, 0
	v_and_b32_e32 v23, 3, v23
	v_and_b32_e32 v25, 3, v25
	v_and_or_b32 v22, 0x1f8, v22, v41
	v_cmp_gt_u32_e64 s0, 9, v36
	s_waitcnt vmcnt(6) lgkmcnt(9)
	v_mul_f32_e32 v103, v57, v43
	v_mul_f32_e32 v43, v75, v43
	s_waitcnt vmcnt(3)
	v_mul_f32_e32 v104, v56, v49
	v_mul_f32_e32 v105, v74, v49
	v_fmac_f32_e32 v103, v75, v42
	s_waitcnt lgkmcnt(8)
	v_mul_f32_e32 v75, v59, v45
	v_mul_f32_e32 v45, v77, v45
	v_fmac_f32_e32 v104, v74, v48
	v_mul_f32_e32 v74, v58, v49
	v_fma_f32 v56, v56, v48, -v105
	v_fmac_f32_e32 v75, v77, v44
	v_mul_f32_e32 v77, v76, v49
	s_waitcnt lgkmcnt(7)
	v_mul_f32_e32 v105, v60, v49
	v_fmac_f32_e32 v74, v76, v48
	v_mul_f32_e32 v76, v61, v47
	v_mul_f32_e32 v47, v19, v47
	v_fma_f32 v58, v58, v48, -v77
	v_and_or_b32 v77, 0x1fc, v21, v98
	v_fmac_f32_e32 v105, v18, v48
	v_fmac_f32_e32 v76, v19, v46
	v_fma_f32 v19, v61, v46, -v47
	v_mul_f32_e32 v61, v18, v49
	v_and_or_b32 v18, 0x3fc, v28, v98
	v_fma_f32 v57, v57, v42, -v43
	ds_read2_b32 v[42:43], v66 offset0:120 offset1:183
	v_fma_f32 v59, v59, v44, -v45
	v_fma_f32 v60, v60, v48, -v61
	s_waitcnt vmcnt(2) lgkmcnt(7)
	v_mul_f32_e32 v61, v73, v51
	v_mul_f32_e32 v51, v17, v51
	ds_read2_b32 v[44:45], v83 offset0:118 offset1:181
	s_waitcnt lgkmcnt(5)
	v_sub_f32_e32 v56, v88, v56
	v_sub_f32_e32 v57, v89, v57
	v_fmac_f32_e32 v61, v17, v50
	v_fma_f32 v17, v73, v50, -v51
	v_mul_f32_e32 v51, v72, v49
	v_lshl_add_u32 v73, v77, 2, 0
	v_lshl_add_u32 v77, v18, 2, 0
	s_waitcnt vmcnt(1)
	v_mul_f32_e32 v18, v79, v53
	v_mul_f32_e32 v53, v13, v53
	v_fmac_f32_e32 v51, v16, v48
	v_mul_f32_e32 v16, v16, v49
	s_waitcnt lgkmcnt(4)
	v_sub_f32_e32 v58, v90, v58
	v_fmac_f32_e32 v18, v13, v52
	v_fma_f32 v13, v79, v52, -v53
	v_mul_f32_e32 v52, v12, v49
	v_fma_f32 v16, v72, v48, -v16
	v_lshl_add_u32 v72, v100, 2, 0
	v_mul_f32_e32 v100, v78, v49
	v_mul_f32_e32 v53, v80, v49
	v_fma_f32 v52, v78, v48, -v52
	v_sub_f32_e32 v59, v91, v59
	v_and_or_b32 v46, 0x3fc, v24, v98
	v_fmac_f32_e32 v100, v12, v48
	v_mul_f32_e32 v12, v14, v49
	s_waitcnt vmcnt(0)
	v_mul_f32_e32 v49, v81, v55
	v_mul_f32_e32 v55, v15, v55
	v_fmac_f32_e32 v53, v14, v48
	v_sub_f32_e32 v51, v6, v51
	v_fma_f32 v12, v80, v48, -v12
	v_fmac_f32_e32 v49, v15, v54
	v_fma_f32 v14, v81, v54, -v55
	v_sub_f32_e32 v15, v0, v104
	v_sub_f32_e32 v48, v1, v103
	;; [unrolled: 1-line block ×11, first 2 shown]
	s_waitcnt lgkmcnt(3)
	v_sub_f32_e32 v60, v94, v60
	v_and_or_b32 v47, 0x2fc, v26, v65
	v_and_or_b32 v65, 0x3fc, v29, v99
	;; [unrolled: 1-line block ×4, first 2 shown]
	v_lshl_add_u32 v78, v101, 2, 0
	v_sub_f32_e32 v79, v95, v19
	s_waitcnt lgkmcnt(2)
	v_sub_f32_e32 v80, v96, v16
	v_sub_f32_e32 v81, v97, v17
	s_waitcnt lgkmcnt(1)
	v_sub_f32_e32 v52, v42, v52
	;; [unrolled: 3-line block ×3, first 2 shown]
	v_sub_f32_e32 v103, v45, v14
	v_fma_f32 v0, v0, 2.0, -v15
	v_fma_f32 v88, v88, 2.0, -v56
	;; [unrolled: 1-line block ×8, first 2 shown]
	v_lshl_add_u32 v46, v46, 2, 0
	v_fma_f32 v4, v4, 2.0, -v74
	v_fma_f32 v5, v5, 2.0, -v75
	;; [unrolled: 1-line block ×9, first 2 shown]
	v_lshlrev_b32_e32 v50, 3, v40
	s_barrier
	buffer_gl0_inv
	v_lshl_add_u32 v47, v47, 2, 0
	v_lshl_add_u32 v65, v65, 2, 0
	;; [unrolled: 1-line block ×4, first 2 shown]
	v_fma_f32 v95, v95, 2.0, -v79
	v_fma_f32 v96, v96, 2.0, -v80
	;; [unrolled: 1-line block ×7, first 2 shown]
	ds_write2_b32 v102, v0, v15 offset1:2
	ds_write2_b32 v35, v1, v48 offset1:2
	;; [unrolled: 1-line block ×12, first 2 shown]
	s_waitcnt lgkmcnt(0)
	s_barrier
	buffer_gl0_inv
	ds_read2_b32 v[0:1], v92 offset1:63
	ds_read2_b32 v[2:3], v84 offset0:116 offset1:179
	ds_read2_b32 v[4:5], v92 offset0:126 offset1:189
	;; [unrolled: 1-line block ×11, first 2 shown]
	s_waitcnt lgkmcnt(0)
	s_barrier
	buffer_gl0_inv
	ds_write2_b32 v102, v88, v56 offset1:2
	ds_write2_b32 v35, v89, v57 offset1:2
	;; [unrolled: 1-line block ×12, first 2 shown]
	v_and_b32_e32 v72, 3, v71
	s_waitcnt lgkmcnt(0)
	s_barrier
	buffer_gl0_inv
	global_load_dwordx2 v[46:47], v50, s[8:9] offset:16
	v_lshlrev_b32_e32 v35, 3, v41
	v_and_b32_e32 v63, 3, v69
	v_and_b32_e32 v65, 3, v70
	v_lshlrev_b32_e32 v54, 3, v72
	v_and_b32_e32 v78, 3, v36
	v_and_b32_e32 v79, 3, v68
	v_lshlrev_b32_e32 v58, 3, v27
	v_lshlrev_b32_e32 v52, 3, v65
	s_clause 0x1
	global_load_dwordx2 v[54:55], v54, s[8:9] offset:16
	global_load_dwordx2 v[48:49], v35, s[8:9] offset:16
	v_lshlrev_b32_e32 v35, 3, v63
	v_lshlrev_b32_e32 v60, 3, v79
	global_load_dwordx2 v[52:53], v52, s[8:9] offset:16
	v_lshlrev_b32_e32 v73, 3, v25
	v_and_or_b32 v72, 0xf8, v20, v72
	global_load_dwordx2 v[50:51], v35, s[8:9] offset:16
	v_lshlrev_b32_e32 v35, 3, v78
	s_clause 0x2
	global_load_dwordx2 v[56:57], v35, s[8:9] offset:16
	global_load_dwordx2 v[58:59], v58, s[8:9] offset:16
	;; [unrolled: 1-line block ×3, first 2 shown]
	v_lshlrev_b32_e32 v35, 3, v23
	s_clause 0x1
	global_load_dwordx2 v[74:75], v35, s[8:9] offset:16
	global_load_dwordx2 v[76:77], v73, s[8:9] offset:16
	v_and_or_b32 v40, 0x1f8, v21, v40
	ds_read2_b32 v[20:21], v82 offset0:114 offset1:177
	v_and_or_b32 v24, 0x3f8, v24, v78
	v_and_or_b32 v26, 0x2f8, v26, v79
	;; [unrolled: 1-line block ×9, first 2 shown]
	v_lshl_add_u32 v65, v72, 2, 0
	v_lshl_add_u32 v72, v40, 2, 0
	;; [unrolled: 1-line block ×11, first 2 shown]
	ds_read2_b32 v[22:23], v93 offset0:110 offset1:173
	ds_read2_b32 v[24:25], v84 offset0:116 offset1:179
	;; [unrolled: 1-line block ×5, first 2 shown]
	ds_read2_b32 v[33:34], v92 offset1:63
	ds_read2_b32 v[40:41], v92 offset0:126 offset1:189
	ds_read2_b32 v[78:79], v62 offset0:124 offset1:187
	v_lshl_add_u32 v95, v80, 2, 0
	ds_read2_b32 v[80:81], v85 offset0:122 offset1:185
	ds_read2_b32 v[88:89], v66 offset0:120 offset1:183
	;; [unrolled: 1-line block ×3, first 2 shown]
	v_and_b32_e32 v35, 7, v36
	v_and_b32_e32 v73, 7, v71
	s_waitcnt vmcnt(0) lgkmcnt(0)
	s_barrier
	buffer_gl0_inv
	v_lshlrev_b32_e32 v94, 4, v35
	v_lshlrev_b32_e32 v63, 4, v73
	v_mov_b32_e32 v107, 0xe38f
	v_mul_u32_u24_sdwa v110, v67, v107 dst_sel:DWORD dst_unused:UNUSED_PAD src0_sel:WORD_0 src1_sel:DWORD
	v_mul_u32_u24_sdwa v111, v68, v107 dst_sel:DWORD dst_unused:UNUSED_PAD src0_sel:WORD_0 src1_sel:DWORD
	;; [unrolled: 1-line block ×3, first 2 shown]
	v_mul_f32_e32 v105, v20, v47
	v_mul_f32_e32 v47, v6, v47
	v_fmac_f32_e32 v105, v6, v46
	v_fma_f32 v6, v20, v46, -v47
	v_mul_f32_e32 v20, v21, v49
	v_mul_f32_e32 v46, v7, v49
	;; [unrolled: 1-line block ×3, first 2 shown]
	v_sub_f32_e32 v6, v40, v6
	v_fmac_f32_e32 v20, v7, v48
	v_mul_f32_e32 v7, v22, v51
	v_mul_f32_e32 v47, v14, v51
	v_fma_f32 v21, v21, v48, -v46
	v_mul_f32_e32 v46, v23, v53
	v_mul_f32_e32 v48, v15, v53
	v_fmac_f32_e32 v7, v14, v50
	v_fma_f32 v14, v22, v50, -v47
	v_mul_f32_e32 v22, v24, v57
	v_mul_f32_e32 v47, v2, v57
	;; [unrolled: 1-line block ×3, first 2 shown]
	v_fmac_f32_e32 v46, v15, v52
	v_fma_f32 v23, v23, v52, -v48
	v_mul_f32_e32 v48, v26, v57
	v_mul_f32_e32 v52, v10, v57
	v_fmac_f32_e32 v22, v2, v56
	v_mul_f32_e32 v2, v30, v75
	v_fma_f32 v24, v24, v56, -v47
	v_mul_f32_e32 v47, v31, v77
	v_mul_f32_e32 v15, v27, v61
	;; [unrolled: 1-line block ×5, first 2 shown]
	v_fmac_f32_e32 v49, v3, v54
	v_fma_f32 v3, v25, v54, -v51
	v_mul_f32_e32 v25, v29, v59
	v_mul_f32_e32 v51, v19, v59
	;; [unrolled: 1-line block ×4, first 2 shown]
	v_fmac_f32_e32 v48, v10, v56
	v_fma_f32 v10, v26, v56, -v52
	v_fmac_f32_e32 v2, v44, v74
	v_fmac_f32_e32 v47, v45, v76
	;; [unrolled: 1-line block ×3, first 2 shown]
	v_fma_f32 v11, v27, v60, -v50
	v_fmac_f32_e32 v53, v18, v56
	v_fma_f32 v18, v28, v56, -v55
	v_fmac_f32_e32 v25, v19, v58
	v_fma_f32 v19, v29, v58, -v51
	v_fma_f32 v26, v30, v74, -v54
	;; [unrolled: 1-line block ×3, first 2 shown]
	v_sub_f32_e32 v22, v0, v22
	v_sub_f32_e32 v24, v33, v24
	;; [unrolled: 1-line block ×23, first 2 shown]
	v_fma_f32 v0, v0, 2.0, -v22
	v_fma_f32 v74, v33, 2.0, -v24
	;; [unrolled: 1-line block ×24, first 2 shown]
	ds_write2_b32 v95, v0, v22 offset1:4
	ds_write2_b32 v65, v1, v28 offset1:4
	;; [unrolled: 1-line block ×12, first 2 shown]
	s_waitcnt lgkmcnt(0)
	s_barrier
	buffer_gl0_inv
	ds_read2_b32 v[44:45], v92 offset1:63
	ds_read2_b32 v[60:61], v66 offset0:120 offset1:183
	ds_read2_b32 v[58:59], v86 offset0:112 offset1:175
	;; [unrolled: 1-line block ×11, first 2 shown]
	s_waitcnt lgkmcnt(0)
	s_barrier
	buffer_gl0_inv
	ds_write2_b32 v95, v74, v24 offset1:4
	ds_write2_b32 v65, v75, v3 offset1:4
	;; [unrolled: 1-line block ×12, first 2 shown]
	s_waitcnt lgkmcnt(0)
	s_barrier
	buffer_gl0_inv
	s_clause 0x1
	global_load_dwordx4 v[4:7], v94, s[8:9] offset:48
	global_load_dwordx4 v[0:3], v63, s[8:9] offset:48
	v_and_b32_e32 v74, 7, v37
	v_and_b32_e32 v75, 7, v108
	;; [unrolled: 1-line block ×5, first 2 shown]
	v_lshlrev_b32_e32 v8, 4, v74
	v_lshlrev_b32_e32 v9, 4, v75
	s_clause 0x1
	global_load_dwordx4 v[12:15], v8, s[8:9] offset:48
	global_load_dwordx4 v[8:11], v9, s[8:9] offset:48
	v_lshlrev_b32_e32 v16, 4, v76
	v_lshlrev_b32_e32 v20, 4, v79
	v_lshlrev_b32_e32 v24, 4, v80
	v_and_b32_e32 v81, 7, v70
	v_lshrrev_b32_e32 v65, 3, v36
	s_clause 0x2
	global_load_dwordx4 v[16:19], v16, s[8:9] offset:48
	global_load_dwordx4 v[20:23], v20, s[8:9] offset:48
	;; [unrolled: 1-line block ×3, first 2 shown]
	v_lshlrev_b32_e32 v24, 4, v81
	v_mul_u32_u24_e32 v77, 24, v65
	v_lshrrev_b32_e32 v78, 3, v71
	v_lshrrev_b32_e32 v98, 3, v37
	;; [unrolled: 1-line block ×3, first 2 shown]
	global_load_dwordx4 v[24:27], v24, s[8:9] offset:48
	v_lshrrev_b32_e32 v89, 3, v67
	v_or_b32_e32 v35, v77, v35
	v_mul_u32_u24_e32 v77, 24, v78
	v_mul_u32_u24_e32 v78, 24, v98
	v_and_b32_e32 v72, 0xff, v36
	v_mul_u32_u24_e32 v88, 24, v88
	v_mul_u32_u24_e32 v89, 24, v89
	v_lshl_add_u32 v96, v35, 2, 0
	v_or_b32_e32 v35, v77, v73
	v_or_b32_e32 v74, v78, v74
	ds_read2_b32 v[77:78], v66 offset0:120 offset1:183
	v_lshrrev_b32_e32 v90, 3, v68
	v_lshrrev_b32_e32 v91, 3, v69
	v_mul_lo_u16 v72, 0xab, v72
	v_or_b32_e32 v88, v88, v75
	v_or_b32_e32 v89, v89, v76
	ds_read2_b32 v[75:76], v86 offset0:112 offset1:175
	v_lshrrev_b32_e32 v94, 3, v70
	v_and_b32_e32 v95, 0xff, v71
	v_mul_u32_u24_e32 v90, 24, v90
	v_mul_u32_u24_e32 v91, 24, v91
	v_lshrrev_b16 v72, 12, v72
	v_mul_u32_u24_e32 v94, 24, v94
	v_mul_lo_u16 v95, 0xab, v95
	v_or_b32_e32 v79, v90, v79
	v_or_b32_e32 v80, v91, v80
	v_mul_lo_u16 v90, v72, 24
	v_or_b32_e32 v81, v94, v81
	v_lshrrev_b16 v73, 12, v95
	v_lshl_add_u32 v94, v74, 2, 0
	v_lshl_add_u32 v95, v88, 2, 0
	;; [unrolled: 1-line block ×3, first 2 shown]
	v_sub_nc_u16 v74, v36, v90
	v_lshl_add_u32 v90, v79, 2, 0
	v_lshl_add_u32 v99, v80, 2, 0
	ds_read2_b32 v[79:80], v83 offset0:118 offset1:181
	ds_read2_b32 v[88:89], v93 offset0:110 offset1:173
	v_lshl_add_u32 v91, v35, 2, 0
	v_mov_b32_e32 v63, 4
	v_and_b32_e32 v65, 0xff, v37
	v_lshl_add_u32 v81, v81, 2, 0
	v_mul_lo_u16 v100, v73, 24
	v_lshlrev_b32_sdwa v101, v63, v74 dst_sel:DWORD dst_unused:UNUSED_PAD src0_sel:DWORD src1_sel:BYTE_0
	s_waitcnt vmcnt(7) lgkmcnt(3)
	v_mul_f32_e32 v35, v77, v5
	v_mul_f32_e32 v5, v60, v5
	s_waitcnt lgkmcnt(2)
	v_mul_f32_e32 v102, v75, v7
	v_mul_f32_e32 v7, v58, v7
	s_waitcnt vmcnt(6)
	v_mul_f32_e32 v103, v78, v1
	v_fmac_f32_e32 v35, v60, v4
	v_fma_f32 v60, v77, v4, -v5
	ds_read2_b32 v[4:5], v84 offset0:116 offset1:179
	v_fmac_f32_e32 v102, v58, v6
	v_fma_f32 v75, v75, v6, -v7
	v_mul_f32_e32 v1, v61, v1
	v_mul_f32_e32 v77, v76, v3
	ds_read2_b32 v[6:7], v64 offset0:108 offset1:171
	v_mul_f32_e32 v3, v59, v3
	v_fmac_f32_e32 v103, v61, v0
	v_fma_f32 v61, v78, v0, -v1
	ds_read2_b32 v[0:1], v82 offset0:114 offset1:177
	v_fmac_f32_e32 v77, v59, v2
	ds_read2_b32 v[58:59], v87 offset0:106 offset1:169
	v_fma_f32 v76, v76, v2, -v3
	s_waitcnt vmcnt(5) lgkmcnt(5)
	v_mul_f32_e32 v78, v79, v13
	v_mul_f32_e32 v2, v56, v13
	s_waitcnt lgkmcnt(4)
	v_mul_f32_e32 v104, v88, v15
	v_mul_f32_e32 v3, v54, v15
	s_waitcnt vmcnt(4)
	v_mul_f32_e32 v105, v80, v9
	v_mul_f32_e32 v9, v57, v9
	v_fmac_f32_e32 v78, v56, v12
	v_fma_f32 v56, v79, v12, -v2
	v_mul_f32_e32 v79, v89, v11
	v_mul_f32_e32 v11, v55, v11
	v_fmac_f32_e32 v104, v54, v14
	v_fma_f32 v54, v88, v14, -v3
	ds_read2_b32 v[2:3], v92 offset1:63
	v_fmac_f32_e32 v105, v57, v8
	ds_read2_b32 v[12:13], v92 offset0:126 offset1:189
	v_fma_f32 v57, v80, v8, -v9
	ds_read2_b32 v[8:9], v62 offset0:124 offset1:187
	v_fmac_f32_e32 v79, v55, v10
	ds_read2_b32 v[14:15], v85 offset0:122 offset1:185
	v_fma_f32 v10, v89, v10, -v11
	s_waitcnt vmcnt(3) lgkmcnt(7)
	v_mul_f32_e32 v11, v4, v17
	v_mul_f32_e32 v17, v52, v17
	s_waitcnt lgkmcnt(6)
	v_mul_f32_e32 v55, v6, v19
	v_mul_f32_e32 v19, v50, v19
	s_waitcnt vmcnt(2)
	v_mul_f32_e32 v80, v5, v21
	v_mul_f32_e32 v21, v53, v21
	v_fmac_f32_e32 v11, v52, v16
	v_fma_f32 v4, v4, v16, -v17
	v_mul_f32_e32 v16, v7, v23
	v_fmac_f32_e32 v55, v50, v18
	v_fma_f32 v6, v6, v18, -v19
	s_waitcnt vmcnt(1) lgkmcnt(5)
	v_mul_f32_e32 v18, v0, v29
	v_mul_f32_e32 v19, v48, v29
	v_fmac_f32_e32 v80, v53, v20
	v_fma_f32 v5, v5, v20, -v21
	s_waitcnt vmcnt(0)
	v_mul_f32_e32 v20, v1, v25
	v_mul_f32_e32 v21, v49, v25
	s_waitcnt lgkmcnt(4)
	v_mul_f32_e32 v25, v59, v27
	v_mul_f32_e32 v27, v47, v27
	;; [unrolled: 1-line block ×5, first 2 shown]
	v_fmac_f32_e32 v16, v51, v22
	v_fmac_f32_e32 v18, v48, v28
	v_fma_f32 v0, v0, v28, -v19
	v_fmac_f32_e32 v20, v49, v24
	v_fmac_f32_e32 v25, v47, v26
	v_fma_f32 v19, v59, v26, -v27
	v_add_f32_e32 v27, v45, v103
	v_fma_f32 v7, v7, v22, -v17
	v_fma_f32 v17, v58, v30, -v29
	v_add_f32_e32 v29, v42, v78
	v_fmac_f32_e32 v23, v46, v30
	v_add_f32_e32 v46, v105, v79
	v_add_f32_e32 v49, v40, v11
	;; [unrolled: 1-line block ×4, first 2 shown]
	v_fma_f32 v1, v1, v24, -v21
	v_add_f32_e32 v21, v44, v35
	v_add_f32_e32 v22, v35, v102
	v_sub_f32_e32 v24, v60, v75
	v_add_f32_e32 v26, v103, v77
	v_add_f32_e32 v47, v43, v105
	;; [unrolled: 1-line block ×4, first 2 shown]
	v_sub_f32_e32 v103, v103, v77
	v_add_f32_e32 v27, v27, v77
	s_waitcnt lgkmcnt(3)
	v_add_f32_e32 v77, v2, v60
	v_add_f32_e32 v60, v60, v75
	;; [unrolled: 1-line block ×3, first 2 shown]
	v_sub_f32_e32 v78, v78, v104
	v_add_f32_e32 v29, v29, v104
	v_add_f32_e32 v104, v61, v76
	v_sub_f32_e32 v31, v56, v54
	v_add_f32_e32 v50, v11, v55
	v_sub_f32_e32 v51, v4, v6
	;; [unrolled: 2-line block ×3, first 2 shown]
	v_fmac_f32_e32 v43, -0.5, v46
	s_waitcnt lgkmcnt(2)
	v_add_f32_e32 v46, v12, v56
	v_add_f32_e32 v56, v56, v54
	v_sub_f32_e32 v11, v11, v55
	v_add_f32_e32 v49, v49, v55
	s_waitcnt lgkmcnt(1)
	v_add_f32_e32 v55, v8, v4
	v_add_f32_e32 v4, v4, v6
	v_sub_f32_e32 v80, v80, v16
	v_fmac_f32_e32 v41, -0.5, v52
	v_add_f32_e32 v52, v5, v7
	v_add_f32_e32 v16, v53, v16
	s_waitcnt lgkmcnt(0)
	v_add_f32_e32 v53, v14, v0
	v_add_f32_e32 v0, v0, v17
	v_sub_f32_e32 v35, v35, v102
	v_add_f32_e32 v21, v21, v102
	v_add_f32_e32 v102, v34, v20
	v_fmac_f32_e32 v45, -0.5, v26
	v_sub_f32_e32 v26, v1, v19
	v_sub_f32_e32 v105, v105, v79
	v_add_f32_e32 v47, v47, v79
	v_add_f32_e32 v79, v57, v10
	v_sub_f32_e32 v18, v18, v23
	v_add_f32_e32 v23, v59, v23
	v_add_f32_e32 v59, v1, v19
	v_fma_f32 v22, -0.5, v22, v44
	v_fmac_f32_e32 v34, -0.5, v106
	v_fma_f32 v2, -0.5, v60, v2
	v_sub_f32_e32 v28, v61, v76
	v_add_f32_e32 v61, v3, v61
	v_fmac_f32_e32 v3, -0.5, v104
	v_sub_f32_e32 v48, v57, v10
	v_sub_f32_e32 v58, v5, v7
	v_add_f32_e32 v5, v9, v5
	v_add_f32_e32 v1, v15, v1
	v_fma_f32 v30, -0.5, v30, v42
	v_fma_f32 v40, -0.5, v50, v40
	v_fma_f32 v33, -0.5, v88, v33
	v_fma_f32 v12, -0.5, v56, v12
	v_fma_f32 v4, -0.5, v4, v8
	v_fmac_f32_e32 v9, -0.5, v52
	v_fma_f32 v0, -0.5, v0, v14
	v_add_f32_e32 v57, v13, v57
	v_sub_f32_e32 v20, v20, v25
	v_add_f32_e32 v75, v77, v75
	v_fmac_f32_e32 v13, -0.5, v79
	v_fmac_f32_e32 v15, -0.5, v59
	v_fmamk_f32 v8, v24, 0xbf5db3d7, v22
	v_fmamk_f32 v42, v26, 0xbf5db3d7, v34
	v_fmac_f32_e32 v34, 0x3f5db3d7, v26
	v_fmamk_f32 v26, v35, 0x3f5db3d7, v2
	v_fmac_f32_e32 v22, 0x3f5db3d7, v24
	v_fmac_f32_e32 v2, 0xbf5db3d7, v35
	v_add_f32_e32 v76, v61, v76
	v_fmamk_f32 v14, v28, 0xbf5db3d7, v45
	v_fmamk_f32 v79, v103, 0x3f5db3d7, v3
	v_fmac_f32_e32 v45, 0x3f5db3d7, v28
	v_fmac_f32_e32 v3, 0xbf5db3d7, v103
	v_add_f32_e32 v77, v46, v54
	v_add_f32_e32 v5, v5, v7
	;; [unrolled: 1-line block ×4, first 2 shown]
	v_fmamk_f32 v17, v31, 0xbf5db3d7, v30
	v_fmac_f32_e32 v30, 0x3f5db3d7, v31
	v_fmamk_f32 v19, v48, 0xbf5db3d7, v43
	v_fmac_f32_e32 v43, 0x3f5db3d7, v48
	;; [unrolled: 2-line block ×5, first 2 shown]
	v_fmamk_f32 v88, v78, 0x3f5db3d7, v12
	v_fmamk_f32 v89, v11, 0x3f5db3d7, v4
	v_fmac_f32_e32 v4, 0xbf5db3d7, v11
	v_fmamk_f32 v11, v80, 0x3f5db3d7, v9
	v_fmac_f32_e32 v9, 0xbf5db3d7, v80
	;; [unrolled: 2-line block ×3, first 2 shown]
	s_barrier
	buffer_gl0_inv
	v_add_f32_e32 v25, v102, v25
	v_add_f32_e32 v10, v57, v10
	;; [unrolled: 1-line block ×3, first 2 shown]
	v_fmac_f32_e32 v12, 0xbf5db3d7, v78
	v_fmamk_f32 v78, v105, 0x3f5db3d7, v13
	v_fmac_f32_e32 v13, 0xbf5db3d7, v105
	v_fmamk_f32 v18, v20, 0x3f5db3d7, v15
	v_fmac_f32_e32 v15, 0xbf5db3d7, v20
	ds_write2_b32 v96, v21, v8 offset1:8
	ds_write_b32 v96, v22 offset:64
	ds_write2_b32 v91, v27, v14 offset1:8
	ds_write_b32 v91, v45 offset:64
	ds_write2_b32 v94, v29, v17 offset1:8
	ds_write_b32 v94, v30 offset:64
	ds_write2_b32 v95, v47, v19 offset1:8
	ds_write_b32 v95, v43 offset:64
	ds_write2_b32 v97, v49, v24 offset1:8
	ds_write_b32 v97, v40 offset:64
	ds_write2_b32 v90, v16, v28 offset1:8
	ds_write_b32 v90, v41 offset:64
	ds_write2_b32 v99, v23, v31 offset1:8
	ds_write_b32 v99, v33 offset:64
	ds_write2_b32 v81, v25, v42 offset1:8
	ds_write_b32 v81, v34 offset:64
	s_waitcnt lgkmcnt(0)
	s_barrier
	buffer_gl0_inv
	ds_read2_b32 v[44:45], v92 offset1:63
	ds_read2_b32 v[60:61], v66 offset0:120 offset1:183
	ds_read2_b32 v[58:59], v86 offset0:112 offset1:175
	;; [unrolled: 1-line block ×11, first 2 shown]
	s_waitcnt lgkmcnt(0)
	s_barrier
	buffer_gl0_inv
	ds_write2_b32 v96, v75, v26 offset1:8
	ds_write_b32 v96, v2 offset:64
	ds_write2_b32 v91, v76, v79 offset1:8
	ds_write_b32 v91, v3 offset:64
	ds_write2_b32 v94, v77, v88 offset1:8
	ds_write_b32 v94, v12 offset:64
	ds_write2_b32 v95, v10, v78 offset1:8
	ds_write_b32 v95, v13 offset:64
	ds_write2_b32 v97, v6, v89 offset1:8
	ds_write_b32 v97, v4 offset:64
	ds_write2_b32 v90, v5, v11 offset1:8
	ds_write_b32 v90, v9 offset:64
	ds_write2_b32 v99, v7, v80 offset1:8
	ds_write_b32 v99, v0 offset:64
	ds_write2_b32 v81, v1, v18 offset1:8
	ds_write_b32 v81, v15 offset:64
	s_waitcnt lgkmcnt(0)
	s_barrier
	buffer_gl0_inv
	global_load_dwordx4 v[0:3], v101, s[8:9] offset:176
	v_and_b32_e32 v76, 0xff, v108
	v_mul_lo_u16 v4, 0xab, v65
	v_sub_nc_u16 v75, v71, v100
	v_mov_b32_e32 v16, 0xaaab
	v_add_nc_u32_e32 v97, -9, v36
	v_mul_lo_u16 v8, 0xab, v76
	v_lshrrev_b16 v88, 12, v4
	v_lshlrev_b32_sdwa v5, v63, v75 dst_sel:DWORD dst_unused:UNUSED_PAD src0_sel:DWORD src1_sel:BYTE_0
	v_mul_u32_u24_sdwa v17, v68, v16 dst_sel:DWORD dst_unused:UNUSED_PAD src0_sel:WORD_0 src1_sel:DWORD
	v_cndmask_b32_e64 v109, v97, v71, s0
	v_lshrrev_b16 v89, 12, v8
	v_mul_lo_u16 v8, v88, 24
	global_load_dwordx4 v[4:7], v5, s[8:9] offset:176
	v_lshrrev_b32_e32 v81, 20, v17
	v_mul_u32_u24_sdwa v17, v69, v16 dst_sel:DWORD dst_unused:UNUSED_PAD src0_sel:WORD_0 src1_sel:DWORD
	v_mul_lo_u16 v9, v89, 24
	v_sub_nc_u16 v77, v37, v8
	v_mul_u32_u24_sdwa v8, v67, v16 dst_sel:DWORD dst_unused:UNUSED_PAD src0_sel:WORD_0 src1_sel:DWORD
	v_mul_u32_u24_sdwa v16, v70, v16 dst_sel:DWORD dst_unused:UNUSED_PAD src0_sel:WORD_0 src1_sel:DWORD
	v_lshrrev_b32_e32 v91, 20, v17
	v_sub_nc_u16 v78, v108, v9
	v_lshlrev_b32_sdwa v9, v63, v77 dst_sel:DWORD dst_unused:UNUSED_PAD src0_sel:DWORD src1_sel:BYTE_0
	v_lshrrev_b32_e32 v79, 20, v8
	v_lshrrev_b32_e32 v94, 20, v16
	v_mul_lo_u16 v16, v91, 24
	v_lshlrev_b32_sdwa v12, v63, v78 dst_sel:DWORD dst_unused:UNUSED_PAD src0_sel:DWORD src1_sel:BYTE_0
	global_load_dwordx4 v[8:11], v9, s[8:9] offset:176
	v_mul_lo_u16 v18, v79, 24
	v_mov_b32_e32 v97, 0x120
	v_sub_nc_u16 v95, v69, v16
	global_load_dwordx4 v[12:15], v12, s[8:9] offset:176
	v_mov_b32_e32 v71, 2
	v_sub_nc_u16 v80, v67, v18
	v_mul_lo_u16 v18, v81, 24
	v_lshlrev_b32_sdwa v16, v63, v95 dst_sel:DWORD dst_unused:UNUSED_PAD src0_sel:DWORD src1_sel:WORD_0
	v_mul_u32_u24_sdwa v102, v73, v97 dst_sel:DWORD dst_unused:UNUSED_PAD src0_sel:WORD_0 src1_sel:DWORD
	v_mul_u32_u24_sdwa v103, v88, v97 dst_sel:DWORD dst_unused:UNUSED_PAD src0_sel:WORD_0 src1_sel:DWORD
	v_lshlrev_b32_sdwa v19, v63, v80 dst_sel:DWORD dst_unused:UNUSED_PAD src0_sel:DWORD src1_sel:WORD_0
	v_sub_nc_u16 v90, v68, v18
	global_load_dwordx4 v[20:23], v16, s[8:9] offset:176
	v_mul_lo_u16 v18, v94, 24
	v_mul_u32_u24_e32 v79, 0x120, v79
	global_load_dwordx4 v[28:31], v19, s[8:9] offset:176
	v_lshlrev_b32_sdwa v17, v63, v90 dst_sel:DWORD dst_unused:UNUSED_PAD src0_sel:DWORD src1_sel:WORD_0
	v_mul_u32_u24_e32 v81, 0x120, v81
	v_sub_nc_u16 v96, v70, v18
	v_lshlrev_b32_sdwa v80, v71, v80 dst_sel:DWORD dst_unused:UNUSED_PAD src0_sel:DWORD src1_sel:WORD_0
	v_lshlrev_b32_sdwa v90, v71, v90 dst_sel:DWORD dst_unused:UNUSED_PAD src0_sel:DWORD src1_sel:WORD_0
	global_load_dwordx4 v[24:27], v17, s[8:9] offset:176
	v_mul_lo_u16 v76, v76, 57
	v_lshlrev_b32_sdwa v16, v63, v96 dst_sel:DWORD dst_unused:UNUSED_PAD src0_sel:DWORD src1_sel:WORD_0
	v_add3_u32 v79, 0, v79, v80
	v_add3_u32 v90, 0, v81, v90
	v_mul_u32_u24_e32 v91, 0x120, v91
	v_lshrrev_b16 v114, 12, v76
	global_load_dwordx4 v[16:19], v16, s[8:9] offset:176
	v_mul_u32_u24_sdwa v101, v72, v97 dst_sel:DWORD dst_unused:UNUSED_PAD src0_sel:WORD_0 src1_sel:DWORD
	v_mul_u32_u24_sdwa v97, v89, v97 dst_sel:DWORD dst_unused:UNUSED_PAD src0_sel:WORD_0 src1_sel:DWORD
	ds_read2_b32 v[72:73], v66 offset0:120 offset1:183
	ds_read2_b32 v[88:89], v86 offset0:112 offset1:175
	v_lshlrev_b32_sdwa v76, v71, v78 dst_sel:DWORD dst_unused:UNUSED_PAD src0_sel:DWORD src1_sel:BYTE_0
	v_mul_u32_u24_e32 v94, 0x120, v94
	v_lshlrev_b32_sdwa v95, v71, v95 dst_sel:DWORD dst_unused:UNUSED_PAD src0_sel:DWORD src1_sel:WORD_0
	v_lshlrev_b32_sdwa v96, v71, v96 dst_sel:DWORD dst_unused:UNUSED_PAD src0_sel:DWORD src1_sel:WORD_0
	v_lshlrev_b32_sdwa v74, v71, v74 dst_sel:DWORD dst_unused:UNUSED_PAD src0_sel:DWORD src1_sel:BYTE_0
	v_add3_u32 v76, 0, v97, v76
	v_mul_lo_u16 v65, v65, 57
	v_add3_u32 v91, 0, v91, v95
	v_add3_u32 v113, 0, v94, v96
	v_lshlrev_b32_sdwa v75, v71, v75 dst_sel:DWORD dst_unused:UNUSED_PAD src0_sel:DWORD src1_sel:BYTE_0
	v_add3_u32 v74, 0, v101, v74
	v_lshrrev_b16 v65, 12, v65
	v_mov_b32_e32 v33, 0
	v_add3_u32 v75, 0, v102, v75
	v_lshlrev_b64 v[99:100], 3, v[32:33]
	v_lshlrev_b32_e32 v32, 1, v109
	v_lshlrev_b64 v[32:33], 3, v[32:33]
	v_add_co_u32 v99, s0, s8, v99
	v_add_co_ci_u32_e64 v100, s0, s9, v100, s0
	v_add_co_u32 v32, s0, s8, v32
	v_add_co_ci_u32_e64 v33, s0, s9, v33, s0
	v_cmp_lt_u32_e64 s0, 8, v36
	s_waitcnt vmcnt(7) lgkmcnt(1)
	v_mul_f32_e32 v80, v72, v1
	v_mul_f32_e32 v1, v60, v1
	s_waitcnt lgkmcnt(0)
	v_mul_f32_e32 v81, v88, v3
	v_mul_f32_e32 v3, v58, v3
	v_fmac_f32_e32 v80, v60, v0
	v_fma_f32 v60, v72, v0, -v1
	v_fmac_f32_e32 v81, v58, v2
	v_fma_f32 v72, v88, v2, -v3
	ds_read2_b32 v[0:1], v83 offset0:118 offset1:181
	ds_read2_b32 v[2:3], v93 offset0:110 offset1:173
	v_lshlrev_b32_sdwa v58, v71, v77 dst_sel:DWORD dst_unused:UNUSED_PAD src0_sel:DWORD src1_sel:BYTE_0
	s_waitcnt vmcnt(6)
	v_mul_f32_e32 v88, v73, v5
	v_mul_f32_e32 v5, v61, v5
	v_mul_f32_e32 v78, v89, v7
	v_add3_u32 v77, 0, v103, v58
	v_mul_f32_e32 v7, v59, v7
	v_fmac_f32_e32 v88, v61, v4
	v_fma_f32 v73, v73, v4, -v5
	ds_read2_b32 v[4:5], v84 offset0:116 offset1:179
	v_fmac_f32_e32 v78, v59, v6
	ds_read2_b32 v[58:59], v64 offset0:108 offset1:171
	v_fma_f32 v89, v89, v6, -v7
	v_mul_lo_u16 v61, 0x48, v65
	s_waitcnt vmcnt(5)
	v_mul_f32_e32 v6, v56, v9
	v_mul_f32_e32 v7, v54, v11
	s_waitcnt lgkmcnt(3)
	v_mul_f32_e32 v94, v0, v9
	s_waitcnt lgkmcnt(2)
	v_mul_f32_e32 v95, v2, v11
	s_waitcnt vmcnt(4)
	v_mul_f32_e32 v96, v1, v13
	v_mul_f32_e32 v97, v3, v15
	v_fmac_f32_e32 v94, v56, v8
	v_fma_f32 v56, v0, v8, -v6
	v_fmac_f32_e32 v95, v54, v10
	v_fma_f32 v54, v2, v10, -v7
	ds_read2_b32 v[6:7], v82 offset0:114 offset1:177
	ds_read2_b32 v[8:9], v87 offset0:106 offset1:169
	v_mul_f32_e32 v0, v57, v13
	v_fmac_f32_e32 v96, v57, v12
	v_mul_f32_e32 v2, v55, v15
	v_fmac_f32_e32 v97, v55, v14
	s_waitcnt vmcnt(2) lgkmcnt(3)
	v_mul_f32_e32 v55, v4, v29
	v_fma_f32 v15, v1, v12, -v0
	ds_read2_b32 v[0:1], v92 offset1:63
	v_mul_f32_e32 v12, v52, v29
	s_waitcnt lgkmcnt(3)
	v_mul_f32_e32 v29, v58, v31
	v_mul_f32_e32 v13, v50, v31
	ds_read2_b32 v[10:11], v92 offset0:126 offset1:189
	v_fma_f32 v14, v3, v14, -v2
	ds_read2_b32 v[2:3], v62 offset0:124 offset1:187
	v_fmac_f32_e32 v55, v52, v28
	v_fma_f32 v4, v4, v28, -v12
	v_fmac_f32_e32 v29, v50, v30
	v_fma_f32 v28, v58, v30, -v13
	ds_read2_b32 v[12:13], v85 offset0:122 offset1:185
	s_waitcnt vmcnt(1)
	v_mul_f32_e32 v30, v5, v25
	v_mul_f32_e32 v25, v53, v25
	;; [unrolled: 1-line block ×4, first 2 shown]
	s_waitcnt vmcnt(0) lgkmcnt(4)
	v_mul_f32_e32 v50, v9, v19
	v_fmac_f32_e32 v30, v53, v24
	v_fma_f32 v5, v5, v24, -v25
	v_mul_f32_e32 v24, v6, v21
	v_fmac_f32_e32 v31, v51, v26
	v_mul_f32_e32 v25, v8, v23
	v_mul_f32_e32 v23, v46, v23
	v_fma_f32 v26, v59, v26, -v27
	v_mul_f32_e32 v27, v7, v17
	v_mul_f32_e32 v17, v49, v17
	;; [unrolled: 1-line block ×4, first 2 shown]
	v_fmac_f32_e32 v24, v48, v20
	v_fmac_f32_e32 v25, v46, v22
	v_fma_f32 v8, v8, v22, -v23
	v_fmac_f32_e32 v27, v49, v16
	v_fma_f32 v7, v7, v16, -v17
	v_fmac_f32_e32 v50, v47, v18
	v_add_f32_e32 v16, v44, v80
	v_add_f32_e32 v22, v42, v94
	;; [unrolled: 1-line block ×6, first 2 shown]
	v_fma_f32 v6, v6, v20, -v21
	v_fma_f32 v9, v9, v18, -v19
	v_add_f32_e32 v17, v80, v81
	v_sub_f32_e32 v18, v60, v72
	v_add_f32_e32 v19, v88, v78
	v_add_f32_e32 v20, v45, v88
	;; [unrolled: 1-line block ×5, first 2 shown]
	v_sub_f32_e32 v80, v80, v81
	v_add_f32_e32 v16, v16, v81
	v_add_f32_e32 v81, v34, v24
	v_sub_f32_e32 v94, v94, v95
	v_add_f32_e32 v22, v22, v95
	v_add_f32_e32 v95, v27, v50
	v_fmac_f32_e32 v43, -0.5, v47
	v_add_f32_e32 v47, v35, v27
	v_sub_f32_e32 v55, v55, v29
	v_add_f32_e32 v29, v51, v29
	s_waitcnt lgkmcnt(3)
	v_add_f32_e32 v51, v0, v60
	v_add_f32_e32 v60, v60, v72
	v_fmac_f32_e32 v41, -0.5, v57
	v_add_f32_e32 v57, v73, v89
	v_sub_f32_e32 v46, v56, v54
	v_sub_f32_e32 v30, v30, v31
	v_add_f32_e32 v31, v58, v31
	s_waitcnt lgkmcnt(2)
	v_add_f32_e32 v58, v10, v56
	v_add_f32_e32 v56, v56, v54
	v_sub_f32_e32 v21, v73, v89
	v_sub_f32_e32 v53, v4, v28
	;; [unrolled: 1-line block ×3, first 2 shown]
	v_fmac_f32_e32 v45, -0.5, v19
	v_add_f32_e32 v19, v24, v25
	v_sub_f32_e32 v88, v88, v78
	v_add_f32_e32 v20, v20, v78
	v_sub_f32_e32 v78, v6, v8
	;; [unrolled: 2-line block ×3, first 2 shown]
	v_add_f32_e32 v25, v81, v25
	v_add_f32_e32 v81, v15, v14
	v_fmac_f32_e32 v35, -0.5, v95
	s_waitcnt lgkmcnt(1)
	v_add_f32_e32 v95, v2, v4
	v_add_f32_e32 v4, v4, v28
	v_sub_f32_e32 v27, v27, v50
	v_add_f32_e32 v47, v47, v50
	v_add_f32_e32 v50, v5, v26
	;; [unrolled: 1-line block ×4, first 2 shown]
	s_waitcnt lgkmcnt(0)
	v_add_f32_e32 v51, v12, v6
	v_add_f32_e32 v6, v6, v8
	v_fmac_f32_e32 v1, -0.5, v57
	v_add_f32_e32 v57, v7, v9
	v_fma_f32 v17, -0.5, v17, v44
	v_fma_f32 v23, -0.5, v23, v42
	;; [unrolled: 1-line block ×3, first 2 shown]
	v_sub_f32_e32 v96, v96, v97
	v_add_f32_e32 v48, v48, v97
	v_sub_f32_e32 v97, v7, v9
	v_add_f32_e32 v7, v13, v7
	v_fma_f32 v40, -0.5, v52, v40
	v_fma_f32 v10, -0.5, v56, v10
	v_sub_f32_e32 v49, v15, v14
	v_add_f32_e32 v15, v11, v15
	v_fma_f32 v19, -0.5, v19, v34
	v_fmac_f32_e32 v11, -0.5, v81
	v_fma_f32 v2, -0.5, v4, v2
	v_fmac_f32_e32 v3, -0.5, v50
	v_add_f32_e32 v4, v5, v26
	v_add_f32_e32 v5, v51, v8
	v_fma_f32 v6, -0.5, v6, v12
	v_fmac_f32_e32 v13, -0.5, v57
	v_fmamk_f32 v8, v18, 0xbf5db3d7, v17
	v_fmamk_f32 v12, v46, 0xbf5db3d7, v23
	v_fmac_f32_e32 v23, 0x3f5db3d7, v46
	v_fmamk_f32 v46, v80, 0x3f5db3d7, v0
	v_fmac_f32_e32 v17, 0x3f5db3d7, v18
	v_fmac_f32_e32 v0, 0xbf5db3d7, v80
	v_add_f32_e32 v34, v73, v89
	v_add_f32_e32 v42, v58, v54
	;; [unrolled: 1-line block ×3, first 2 shown]
	v_fmamk_f32 v9, v21, 0xbf5db3d7, v45
	v_fmamk_f32 v54, v88, 0x3f5db3d7, v1
	v_fmac_f32_e32 v45, 0x3f5db3d7, v21
	v_fmac_f32_e32 v1, 0xbf5db3d7, v88
	v_fmamk_f32 v21, v53, 0xbf5db3d7, v40
	v_fmac_f32_e32 v40, 0x3f5db3d7, v53
	v_fmamk_f32 v26, v59, 0xbf5db3d7, v41
	;; [unrolled: 2-line block ×3, first 2 shown]
	s_barrier
	buffer_gl0_inv
	v_add_f32_e32 v14, v15, v14
	v_add_f32_e32 v15, v95, v28
	v_fmamk_f32 v18, v49, 0xbf5db3d7, v43
	v_fmac_f32_e32 v43, 0x3f5db3d7, v49
	v_fmamk_f32 v28, v78, 0xbf5db3d7, v19
	v_fmac_f32_e32 v19, 0x3f5db3d7, v78
	;; [unrolled: 2-line block ×3, first 2 shown]
	v_fmac_f32_e32 v10, 0xbf5db3d7, v94
	v_fmamk_f32 v57, v96, 0x3f5db3d7, v11
	v_fmac_f32_e32 v11, 0xbf5db3d7, v96
	v_fmamk_f32 v58, v55, 0x3f5db3d7, v2
	;; [unrolled: 2-line block ×5, first 2 shown]
	v_fmac_f32_e32 v13, 0xbf5db3d7, v27
	ds_write2_b32 v74, v16, v8 offset1:24
	ds_write_b32 v74, v17 offset:192
	ds_write2_b32 v75, v20, v9 offset1:24
	ds_write_b32 v75, v45 offset:192
	;; [unrolled: 2-line block ×8, first 2 shown]
	s_waitcnt lgkmcnt(0)
	s_barrier
	buffer_gl0_inv
	ds_read2_b32 v[48:49], v92 offset1:63
	ds_read2_b32 v[26:27], v66 offset0:120 offset1:183
	ds_read2_b32 v[29:30], v86 offset0:112 offset1:175
	;; [unrolled: 1-line block ×11, first 2 shown]
	s_waitcnt lgkmcnt(0)
	s_barrier
	buffer_gl0_inv
	ds_write2_b32 v74, v72, v46 offset1:24
	ds_write_b32 v74, v0 offset:192
	ds_write2_b32 v75, v34, v54 offset1:24
	ds_write_b32 v75, v1 offset:192
	;; [unrolled: 2-line block ×8, first 2 shown]
	v_mul_lo_u16 v0, 0x48, v114
	v_sub_nc_u16 v1, v37, v61
	v_lshrrev_b32_e32 v2, 22, v110
	v_lshrrev_b32_e32 v3, 22, v111
	v_mul_u32_u24_sdwa v6, v69, v107 dst_sel:DWORD dst_unused:UNUSED_PAD src0_sel:WORD_0 src1_sel:DWORD
	v_sub_nc_u16 v0, v108, v0
	v_lshlrev_b32_sdwa v4, v63, v1 dst_sel:DWORD dst_unused:UNUSED_PAD src0_sel:DWORD src1_sel:BYTE_0
	v_mul_lo_u16 v5, 0x48, v2
	s_waitcnt lgkmcnt(0)
	s_barrier
	v_lshlrev_b32_sdwa v8, v63, v0 dst_sel:DWORD dst_unused:UNUSED_PAD src0_sel:DWORD src1_sel:BYTE_0
	buffer_gl0_inv
	global_load_dwordx4 v[22:25], v4, s[8:9] offset:560
	v_mul_lo_u16 v7, 0x48, v3
	v_lshrrev_b32_e32 v9, 22, v6
	global_load_dwordx4 v[44:47], v8, s[8:9] offset:560
	v_sub_nc_u16 v4, v67, v5
	v_lshrrev_b32_e32 v5, 22, v112
	v_sub_nc_u16 v7, v68, v7
	v_mul_lo_u16 v8, 0x48, v9
	s_clause 0x1
	global_load_dwordx4 v[14:17], v[99:100], off offset:560
	global_load_dwordx4 v[18:21], v[32:33], off offset:560
	v_mul_lo_u16 v5, 0x48, v5
	v_lshlrev_b32_sdwa v6, v63, v4 dst_sel:DWORD dst_unused:UNUSED_PAD src0_sel:DWORD src1_sel:WORD_0
	v_lshlrev_b32_sdwa v10, v63, v7 dst_sel:DWORD dst_unused:UNUSED_PAD src0_sel:DWORD src1_sel:WORD_0
	v_sub_nc_u16 v8, v69, v8
	v_mov_b32_e32 v11, 0x360
	v_sub_nc_u16 v5, v70, v5
	s_clause 0x1
	global_load_dwordx4 v[58:61], v6, s[8:9] offset:560
	global_load_dwordx4 v[67:70], v10, s[8:9] offset:560
	v_lshlrev_b32_sdwa v6, v63, v8 dst_sel:DWORD dst_unused:UNUSED_PAD src0_sel:DWORD src1_sel:WORD_0
	v_mul_u32_u24_e32 v2, 0x360, v2
	v_and_b32_e32 v5, 0xffff, v5
	v_mul_u32_u24_e32 v3, 0x360, v3
	v_mul_u32_u24_sdwa v12, v65, v11 dst_sel:DWORD dst_unused:UNUSED_PAD src0_sel:WORD_0 src1_sel:DWORD
	v_mul_u32_u24_sdwa v11, v114, v11 dst_sel:DWORD dst_unused:UNUSED_PAD src0_sel:WORD_0 src1_sel:DWORD
	v_lshlrev_b32_sdwa v4, v71, v4 dst_sel:DWORD dst_unused:UNUSED_PAD src0_sel:DWORD src1_sel:WORD_0
	v_lshlrev_b32_e32 v10, 4, v5
	s_clause 0x1
	global_load_dwordx4 v[74:77], v6, s[8:9] offset:560
	global_load_dwordx4 v[88:91], v10, s[8:9] offset:560
	ds_read2_b32 v[31:32], v66 offset0:120 offset1:183
	ds_read2_b32 v[56:57], v86 offset0:112 offset1:175
	v_cndmask_b32_e64 v6, 0, 0x360, s0
	v_lshlrev_b32_e32 v10, 2, v109
	v_lshlrev_b32_sdwa v7, v71, v7 dst_sel:DWORD dst_unused:UNUSED_PAD src0_sel:DWORD src1_sel:WORD_0
	v_lshlrev_b32_sdwa v1, v71, v1 dst_sel:DWORD dst_unused:UNUSED_PAD src0_sel:DWORD src1_sel:BYTE_0
	v_lshlrev_b32_sdwa v0, v71, v0 dst_sel:DWORD dst_unused:UNUSED_PAD src0_sel:DWORD src1_sel:BYTE_0
	v_lshlrev_b32_sdwa v13, v71, v8 dst_sel:DWORD dst_unused:UNUSED_PAD src0_sel:DWORD src1_sel:WORD_0
	v_add3_u32 v6, 0, v6, v10
	v_mul_u32_u24_e32 v10, 0x360, v9
	v_add3_u32 v8, 0, v2, v4
	v_add3_u32 v7, 0, v3, v7
	v_lshl_add_u32 v9, v5, 2, 0
	v_add3_u32 v12, 0, v12, v1
	v_add3_u32 v11, 0, v11, v0
	ds_read2_b32 v[65:66], v83 offset0:118 offset1:181
	ds_read2_b32 v[99:100], v93 offset0:110 offset1:173
	;; [unrolled: 1-line block ×7, first 2 shown]
	ds_read2_b32 v[4:5], v92 offset1:63
	ds_read2_b32 v[2:3], v92 offset0:126 offset1:189
	ds_read2_b32 v[42:43], v85 offset0:122 offset1:185
	v_add3_u32 v10, 0, v10, v13
	v_add_nc_u32_e32 v13, 0x1400, v9
	s_waitcnt vmcnt(0) lgkmcnt(0)
	s_barrier
	buffer_gl0_inv
	v_cmp_gt_u32_e64 s0, 27, v36
	v_mul_f32_e32 v28, v99, v25
	v_fmac_f32_e32 v28, v80, v24
	v_mul_f32_e32 v54, v31, v15
	v_mul_f32_e32 v15, v26, v15
	;; [unrolled: 1-line block ×7, first 2 shown]
	v_fmac_f32_e32 v54, v26, v14
	v_fma_f32 v78, v31, v14, -v15
	v_fmac_f32_e32 v55, v29, v16
	v_fma_f32 v35, v56, v16, -v17
	v_mul_f32_e32 v14, v30, v21
	v_mul_f32_e32 v26, v65, v23
	;; [unrolled: 1-line block ×5, first 2 shown]
	v_fmac_f32_e32 v33, v27, v18
	v_mul_f32_e32 v27, v66, v45
	v_fma_f32 v79, v32, v18, -v19
	v_mul_f32_e32 v29, v100, v47
	v_fmac_f32_e32 v34, v30, v20
	v_mul_f32_e32 v18, v109, v59
	v_fma_f32 v72, v57, v20, -v14
	v_mul_f32_e32 v21, v63, v61
	v_mul_f32_e32 v19, v110, v68
	;; [unrolled: 1-line block ×3, first 2 shown]
	v_fmac_f32_e32 v26, v50, v22
	v_fma_f32 v50, v99, v24, -v16
	v_mul_f32_e32 v14, v111, v75
	v_mul_f32_e32 v16, v113, v77
	v_mul_f32_e32 v30, v101, v61
	v_fma_f32 v73, v65, v22, -v15
	v_mul_f32_e32 v22, v102, v70
	v_mul_f32_e32 v45, v105, v77
	v_mul_f32_e32 v15, v112, v89
	;; [unrolled: 4-line block ×3, first 2 shown]
	v_mul_f32_e32 v25, v96, v59
	v_mul_f32_e32 v32, v97, v68
	;; [unrolled: 1-line block ×3, first 2 shown]
	v_fmac_f32_e32 v27, v51, v44
	v_fmac_f32_e32 v29, v81, v46
	;; [unrolled: 1-line block ×8, first 2 shown]
	v_mul_f32_e32 v44, v104, v89
	v_fma_f32 v31, v63, v60, -v30
	v_fma_f32 v30, v64, v69, -v22
	;; [unrolled: 1-line block ×3, first 2 shown]
	v_fmac_f32_e32 v15, v104, v88
	v_fmac_f32_e32 v17, v106, v90
	v_add_f32_e32 v45, v54, v55
	v_fma_f32 v56, v100, v46, -v23
	v_fma_f32 v23, v114, v90, -v47
	v_add_f32_e32 v47, v33, v34
	v_fma_f32 v51, v109, v58, -v25
	v_fma_f32 v32, v110, v67, -v32
	;; [unrolled: 1-line block ×3, first 2 shown]
	v_add_f32_e32 v61, v26, v28
	v_add_f32_e32 v63, v27, v29
	;; [unrolled: 1-line block ×5, first 2 shown]
	v_fma_f32 v25, v112, v88, -v44
	v_add_f32_e32 v44, v48, v54
	v_sub_f32_e32 v46, v78, v35
	v_add_f32_e32 v77, v15, v17
	v_fma_f32 v48, -0.5, v45, v48
	v_add_f32_e32 v58, v49, v33
	v_sub_f32_e32 v59, v79, v72
	v_fmac_f32_e32 v49, -0.5, v47
	v_add_f32_e32 v60, v52, v26
	v_sub_f32_e32 v62, v73, v50
	v_add_f32_e32 v64, v53, v27
	v_sub_f32_e32 v65, v57, v56
	;; [unrolled: 2-line block ×5, first 2 shown]
	v_fma_f32 v52, -0.5, v61, v52
	v_fmac_f32_e32 v53, -0.5, v63
	v_fma_f32 v63, -0.5, v67, v94
	v_fmac_f32_e32 v95, -0.5, v69
	v_fma_f32 v40, -0.5, v75, v40
	v_add_f32_e32 v80, v41, v15
	v_sub_f32_e32 v81, v25, v23
	v_add_f32_e32 v88, v44, v55
	v_fmac_f32_e32 v41, -0.5, v77
	v_fmamk_f32 v67, v46, 0xbf5db3d7, v48
	v_fmac_f32_e32 v48, 0x3f5db3d7, v46
	v_add_f32_e32 v47, v58, v34
	v_fmamk_f32 v46, v59, 0xbf5db3d7, v49
	v_fmac_f32_e32 v49, 0x3f5db3d7, v59
	v_add_f32_e32 v58, v60, v28
	v_add_f32_e32 v60, v64, v29
	;; [unrolled: 1-line block ×5, first 2 shown]
	v_fmamk_f32 v59, v62, 0xbf5db3d7, v52
	v_fmac_f32_e32 v52, 0x3f5db3d7, v62
	v_fmamk_f32 v62, v65, 0xbf5db3d7, v53
	v_fmac_f32_e32 v53, 0x3f5db3d7, v65
	;; [unrolled: 2-line block ×3, first 2 shown]
	v_fmamk_f32 v68, v71, 0xbf5db3d7, v95
	v_fmamk_f32 v69, v76, 0xbf5db3d7, v40
	v_add_f32_e32 v44, v80, v17
	v_fmac_f32_e32 v95, 0x3f5db3d7, v71
	v_fmac_f32_e32 v40, 0x3f5db3d7, v76
	v_fmamk_f32 v45, v81, 0xbf5db3d7, v41
	v_fmac_f32_e32 v41, 0x3f5db3d7, v81
	ds_write2_b32 v92, v88, v67 offset1:72
	ds_write_b32 v92, v48 offset:576
	ds_write2_b32 v6, v47, v46 offset1:72
	ds_write_b32 v6, v49 offset:576
	;; [unrolled: 2-line block ×7, first 2 shown]
	ds_write2_b32 v13, v44, v45 offset0:16 offset1:88
	ds_write_b32 v9, v41 offset:5760
	s_waitcnt lgkmcnt(0)
	s_barrier
	buffer_gl0_inv
	ds_read_b32 v110, v92 offset:5688
	ds_read2_b32 v[52:53], v92 offset1:63
	ds_read2_b32 v[58:59], v92 offset0:126 offset1:216
	ds_read2_b32 v[60:61], v85 offset0:176 offset1:239
	;; [unrolled: 1-line block ×9, first 2 shown]
                                        ; implicit-def: $vgpr109
                                        ; implicit-def: $vgpr46
                                        ; implicit-def: $vgpr49
	s_and_saveexec_b32 s1, s0
	s_cbranch_execz .LBB0_13
; %bb.12:
	v_add_nc_u32_e32 v40, 0x980, v92
	v_add_nc_u32_e32 v41, 0x280, v92
	ds_read2_b32 v[48:49], v40 offset0:13 offset1:229
	ds_read2_b32 v[44:45], v41 offset0:29 offset1:245
	;; [unrolled: 1-line block ×3, first 2 shown]
	ds_read_b32 v109, v92 offset:5940
	s_waitcnt lgkmcnt(3)
	v_mov_b32_e32 v41, v48
.LBB0_13:
	s_or_b32 exec_lo, exec_lo, s1
	v_add_f32_e32 v40, v78, v35
	v_sub_f32_e32 v54, v54, v55
	v_add_f32_e32 v55, v79, v72
	v_add_f32_e32 v48, v4, v78
	v_sub_f32_e32 v33, v33, v34
	v_fma_f32 v4, -0.5, v40, v4
	v_add_f32_e32 v40, v5, v79
	v_fmac_f32_e32 v5, -0.5, v55
	v_add_f32_e32 v34, v48, v35
	v_add_f32_e32 v48, v73, v50
	v_fmamk_f32 v35, v54, 0x3f5db3d7, v4
	v_fmac_f32_e32 v4, 0xbf5db3d7, v54
	v_fmamk_f32 v54, v33, 0x3f5db3d7, v5
	v_fmac_f32_e32 v5, 0xbf5db3d7, v33
	v_add_f32_e32 v33, v57, v56
	v_add_f32_e32 v55, v2, v73
	v_fma_f32 v2, -0.5, v48, v2
	v_sub_f32_e32 v26, v26, v28
	v_add_f32_e32 v48, v3, v57
	v_fmac_f32_e32 v3, -0.5, v33
	v_sub_f32_e32 v27, v27, v29
	v_add_f32_e32 v28, v55, v50
	v_fmamk_f32 v29, v26, 0x3f5db3d7, v2
	v_fmac_f32_e32 v2, 0xbf5db3d7, v26
	v_add_f32_e32 v26, v48, v56
	v_add_f32_e32 v33, v51, v31
	v_fmamk_f32 v48, v27, 0x3f5db3d7, v3
	v_add_f32_e32 v50, v0, v51
	v_fmac_f32_e32 v3, 0xbf5db3d7, v27
	v_add_f32_e32 v27, v32, v30
	v_fma_f32 v0, -0.5, v33, v0
	v_sub_f32_e32 v18, v18, v21
	v_add_f32_e32 v21, v50, v31
	v_add_f32_e32 v31, v1, v32
	v_fmac_f32_e32 v1, -0.5, v27
	v_sub_f32_e32 v19, v19, v20
	v_fmamk_f32 v20, v18, 0x3f5db3d7, v0
	v_fmac_f32_e32 v0, 0xbf5db3d7, v18
	v_add_f32_e32 v18, v31, v30
	v_add_f32_e32 v27, v24, v22
	v_fmamk_f32 v30, v19, 0x3f5db3d7, v1
	v_fmac_f32_e32 v1, 0xbf5db3d7, v19
	v_add_f32_e32 v19, v25, v23
	v_add_f32_e32 v24, v42, v24
	v_fma_f32 v27, -0.5, v27, v42
	v_sub_f32_e32 v14, v14, v16
	v_add_f32_e32 v16, v43, v25
	v_fmac_f32_e32 v43, -0.5, v19
	v_sub_f32_e32 v15, v15, v17
	v_add_f32_e32 v40, v40, v72
	v_add_f32_e32 v17, v24, v22
	v_fmamk_f32 v19, v14, 0x3f5db3d7, v27
	v_fmac_f32_e32 v27, 0xbf5db3d7, v14
	v_add_f32_e32 v50, v16, v23
	v_fmamk_f32 v51, v15, 0x3f5db3d7, v43
	v_fmac_f32_e32 v43, 0xbf5db3d7, v15
	s_waitcnt lgkmcnt(0)
	s_barrier
	buffer_gl0_inv
	ds_write2_b32 v92, v34, v35 offset1:72
	ds_write_b32 v92, v4 offset:576
	ds_write2_b32 v6, v40, v54 offset1:72
	ds_write_b32 v6, v5 offset:576
	;; [unrolled: 2-line block ×7, first 2 shown]
	ds_write2_b32 v13, v50, v51 offset0:16 offset1:88
	ds_write_b32 v9, v43 offset:5760
	s_waitcnt lgkmcnt(0)
	s_barrier
	buffer_gl0_inv
	ds_read2_b32 v[72:73], v92 offset1:63
	ds_read2_b32 v[78:79], v92 offset0:126 offset1:216
	ds_read2_b32 v[80:81], v85 offset0:176 offset1:239
	;; [unrolled: 1-line block ×9, first 2 shown]
	ds_read_b32 v48, v92 offset:5688
                                        ; implicit-def: $vgpr54
                                        ; implicit-def: $vgpr42
                                        ; implicit-def: $vgpr57
	s_and_saveexec_b32 s1, s0
	s_cbranch_execz .LBB0_15
; %bb.14:
	v_add_nc_u32_e32 v0, 0x980, v92
	v_add_nc_u32_e32 v1, 0x280, v92
	;; [unrolled: 1-line block ×3, first 2 shown]
	ds_read2_b32 v[56:57], v0 offset0:13 offset1:229
	ds_read2_b32 v[50:51], v1 offset0:29 offset1:245
	;; [unrolled: 1-line block ×3, first 2 shown]
	ds_read_b32 v42, v92 offset:5940
	s_waitcnt lgkmcnt(3)
	v_mov_b32_e32 v43, v56
.LBB0_15:
	s_or_b32 exec_lo, exec_lo, s1
	s_and_saveexec_b32 s1, vcc_lo
	s_cbranch_execz .LBB0_18
; %bb.16:
	v_mul_u32_u24_e32 v0, 6, v37
	v_mul_u32_u24_e32 v9, 6, v36
	v_mad_u32_u24 v92, v37, 6, 0xfffffe86
	v_mov_b32_e32 v93, 0
	v_mul_hi_u32 v40, 0x97b425f, v98
	v_lshlrev_b32_e32 v8, 3, v0
	s_clause 0x2
	global_load_dwordx4 v[4:7], v8, s[8:9] offset:1728
	global_load_dwordx4 v[0:3], v8, s[8:9] offset:1744
	;; [unrolled: 1-line block ×3, first 2 shown]
	v_lshlrev_b32_e32 v8, 3, v9
	v_mov_b32_e32 v37, v93
	s_clause 0x2
	global_load_dwordx4 v[28:31], v8, s[8:9] offset:1728
	global_load_dwordx4 v[20:23], v8, s[8:9] offset:1712
	;; [unrolled: 1-line block ×3, first 2 shown]
	v_lshlrev_b64 v[8:9], 3, v[92:93]
	v_lshlrev_b64 v[98:99], 3, v[36:37]
	v_mul_u32_u24_e32 v92, 0x510, v40
	v_add_co_u32 v16, vcc_lo, s8, v8
	v_add_co_ci_u32_e32 v17, vcc_lo, s9, v9, vcc_lo
	s_clause 0x2
	global_load_dwordx4 v[8:11], v[16:17], off offset:1712
	global_load_dwordx4 v[12:15], v[16:17], off offset:1744
	;; [unrolled: 1-line block ×3, first 2 shown]
	v_add_co_u32 v37, vcc_lo, s2, v38
	v_add_co_ci_u32_e32 v38, vcc_lo, s3, v39, vcc_lo
	v_add_co_u32 v104, vcc_lo, v37, v98
	v_add_co_ci_u32_e32 v105, vcc_lo, v38, v99, vcc_lo
	v_lshlrev_b64 v[98:99], 3, v[92:93]
	v_add_co_u32 v37, vcc_lo, 0x800, v104
	v_add_co_ci_u32_e32 v38, vcc_lo, 0, v105, vcc_lo
	v_add_co_u32 v102, vcc_lo, 0x1000, v104
	v_add_co_ci_u32_e32 v103, vcc_lo, 0, v105, vcc_lo
	;; [unrolled: 2-line block ×7, first 2 shown]
	s_waitcnt vmcnt(8) lgkmcnt(5)
	v_mul_f32_e32 v56, v94, v7
	s_waitcnt lgkmcnt(2)
	v_mul_f32_e32 v92, v89, v5
	v_mul_f32_e32 v5, v67, v5
	;; [unrolled: 1-line block ×3, first 2 shown]
	s_waitcnt vmcnt(7) lgkmcnt(0)
	v_mul_f32_e32 v113, v48, v3
	v_mul_f32_e32 v114, v85, v1
	;; [unrolled: 1-line block ×4, first 2 shown]
	s_waitcnt vmcnt(6)
	v_mul_f32_e32 v115, v87, v33
	v_mul_f32_e32 v116, v96, v35
	v_fmac_f32_e32 v56, v74, v6
	v_fmac_f32_e32 v92, v67, v4
	v_fma_f32 v4, v89, v4, -v5
	v_fma_f32 v5, v94, v6, -v7
	v_mul_f32_e32 v6, v71, v33
	v_mul_f32_e32 v7, v76, v35
	s_waitcnt vmcnt(5)
	v_mul_f32_e32 v33, v97, v29
	s_waitcnt vmcnt(4)
	v_mul_f32_e32 v35, v79, v21
	v_fmac_f32_e32 v113, v110, v2
	s_waitcnt vmcnt(3)
	v_mul_f32_e32 v67, v90, v27
	v_fma_f32 v2, v48, v2, -v3
	v_mul_f32_e32 v3, v77, v29
	v_fmac_f32_e32 v114, v65, v0
	v_fma_f32 v0, v85, v0, -v1
	v_mul_f32_e32 v1, v82, v31
	v_mul_f32_e32 v29, v80, v23
	;; [unrolled: 1-line block ×8, first 2 shown]
	v_fmac_f32_e32 v115, v71, v32
	v_fmac_f32_e32 v116, v76, v34
	v_fma_f32 v6, v87, v32, -v6
	v_fma_f32 v7, v96, v34, -v7
	v_fmac_f32_e32 v33, v77, v28
	v_fma_f32 v3, v97, v28, -v3
	v_fmac_f32_e32 v1, v62, v30
	;; [unrolled: 2-line block ×3, first 2 shown]
	v_fmac_f32_e32 v67, v68, v26
	v_fmac_f32_e32 v29, v60, v22
	;; [unrolled: 1-line block ×3, first 2 shown]
	v_fma_f32 v26, v90, v26, -v27
	v_fma_f32 v20, v79, v20, -v21
	;; [unrolled: 1-line block ×4, first 2 shown]
	s_waitcnt vmcnt(2)
	v_mul_f32_e32 v23, v86, v9
	s_waitcnt vmcnt(1)
	v_mul_f32_e32 v24, v91, v15
	;; [unrolled: 2-line block ×3, first 2 shown]
	v_mul_f32_e32 v27, v88, v17
	v_mul_f32_e32 v30, v81, v11
	;; [unrolled: 1-line block ×9, first 2 shown]
	v_sub_f32_e32 v32, v115, v113
	v_add_f32_e32 v34, v115, v113
	v_sub_f32_e32 v59, v56, v92
	v_add_f32_e32 v56, v56, v92
	;; [unrolled: 2-line block ×3, first 2 shown]
	v_add_f32_e32 v65, v6, v2
	v_sub_f32_e32 v2, v6, v2
	v_add_f32_e32 v6, v5, v4
	v_sub_f32_e32 v4, v5, v4
	;; [unrolled: 2-line block ×3, first 2 shown]
	v_sub_f32_e32 v7, v35, v67
	v_add_f32_e32 v35, v35, v67
	v_sub_f32_e32 v67, v1, v33
	v_add_f32_e32 v1, v1, v33
	;; [unrolled: 2-line block ×3, first 2 shown]
	v_add_f32_e32 v48, v20, v26
	v_sub_f32_e32 v20, v20, v26
	v_add_f32_e32 v26, v28, v3
	v_sub_f32_e32 v3, v28, v3
	;; [unrolled: 2-line block ×3, first 2 shown]
	v_fmac_f32_e32 v23, v70, v8
	v_fmac_f32_e32 v24, v69, v14
	;; [unrolled: 1-line block ×6, first 2 shown]
	v_fma_f32 v14, v91, v14, -v15
	v_fma_f32 v8, v86, v8, -v9
	;; [unrolled: 1-line block ×6, first 2 shown]
	v_sub_f32_e32 v11, v32, v59
	v_sub_f32_e32 v13, v59, v60
	v_add_f32_e32 v16, v59, v60
	v_sub_f32_e32 v17, v65, v6
	v_sub_f32_e32 v18, v6, v5
	v_add_f32_e32 v19, v65, v5
	;; [unrolled: 3-line block ×4, first 2 shown]
	v_sub_f32_e32 v60, v60, v32
	v_sub_f32_e32 v5, v5, v65
	;; [unrolled: 1-line block ×6, first 2 shown]
	v_add_f32_e32 v66, v67, v33
	v_sub_f32_e32 v67, v48, v26
	v_sub_f32_e32 v68, v26, v28
	v_add_f32_e32 v69, v48, v28
	v_sub_f32_e32 v70, v35, v1
	v_sub_f32_e32 v71, v1, v29
	;; [unrolled: 3-line block ×3, first 2 shown]
	v_sub_f32_e32 v29, v29, v35
	v_sub_f32_e32 v35, v23, v24
	;; [unrolled: 1-line block ×3, first 2 shown]
	v_add_f32_e32 v79, v8, v14
	v_add_f32_e32 v81, v10, v12
	;; [unrolled: 1-line block ×5, first 2 shown]
	v_sub_f32_e32 v75, v20, v3
	v_add_f32_e32 v3, v3, v21
	v_sub_f32_e32 v33, v33, v7
	v_sub_f32_e32 v21, v21, v20
	;; [unrolled: 1-line block ×3, first 2 shown]
	v_add_f32_e32 v80, v15, v9
	v_sub_f32_e32 v8, v8, v14
	v_sub_f32_e32 v9, v15, v9
	v_sub_f32_e32 v10, v10, v12
	v_mul_f32_e32 v12, 0x3f08b237, v13
	v_mul_f32_e32 v14, 0x3f4a47b2, v17
	;; [unrolled: 1-line block ×3, first 2 shown]
	v_add_f32_e32 v6, v6, v19
	v_add_f32_e32 v19, v56, v61
	v_mul_f32_e32 v27, 0x3f08b237, v64
	v_add_f32_e32 v4, v2, v4
	v_mul_f32_e32 v2, 0xbf5ff5aa, v60
	v_mul_f32_e32 v30, 0xbf5ff5aa, v62
	;; [unrolled: 1-line block ×3, first 2 shown]
	v_add_f32_e32 v7, v7, v66
	v_add_f32_e32 v26, v26, v69
	v_mul_f32_e32 v61, 0x3d64c772, v71
	v_add_f32_e32 v64, v1, v74
	v_mul_f32_e32 v66, 0x3f08b237, v76
	v_add_f32_e32 v83, v79, v81
	v_add_f32_e32 v86, v23, v25
	;; [unrolled: 1-line block ×3, first 2 shown]
	v_mul_f32_e32 v16, 0x3f4a47b2, v22
	v_mul_f32_e32 v18, 0x3d64c772, v59
	;; [unrolled: 1-line block ×5, first 2 shown]
	v_add_f32_e32 v20, v20, v3
	v_mul_f32_e32 v68, 0xbf5ff5aa, v33
	v_mul_f32_e32 v69, 0xbf5ff5aa, v21
	v_sub_f32_e32 v71, v35, v48
	v_sub_f32_e32 v74, v48, v77
	v_add_f32_e32 v48, v48, v77
	v_sub_f32_e32 v82, v80, v81
	v_sub_f32_e32 v84, v23, v24
	;; [unrolled: 1-line block ×5, first 2 shown]
	v_add_f32_e32 v9, v9, v10
	v_sub_f32_e32 v77, v77, v35
	v_sub_f32_e32 v23, v25, v23
	;; [unrolled: 1-line block ×3, first 2 shown]
	v_fmamk_f32 v25, v11, 0xbeae86e6, v12
	v_fmamk_f32 v17, v17, 0x3f4a47b2, v15
	v_add_f32_e32 v1, v78, v6
	v_add_f32_e32 v0, v58, v19
	v_fmamk_f32 v58, v63, 0xbeae86e6, v27
	v_fma_f32 v11, 0x3eae86e6, v11, -v2
	v_fma_f32 v14, 0xbf3bfb3b, v5, -v14
	;; [unrolled: 1-line block ×6, first 2 shown]
	v_fmamk_f32 v27, v65, 0xbeae86e6, v31
	v_add_f32_e32 v3, v72, v26
	v_fmamk_f32 v60, v70, 0x3f4a47b2, v61
	v_add_f32_e32 v2, v52, v64
	v_fma_f32 v31, 0xbf5ff5aa, v33, -v31
	v_fma_f32 v33, 0xbf5ff5aa, v21, -v66
	;; [unrolled: 1-line block ×3, first 2 shown]
	v_add_f32_e32 v61, v80, v83
	v_add_f32_e32 v24, v24, v86
	v_sub_f32_e32 v76, v79, v80
	v_fmamk_f32 v22, v22, 0x3f4a47b2, v18
	v_fma_f32 v16, 0xbf3bfb3b, v34, -v16
	v_fma_f32 v18, 0x3f3bfb3b, v34, -v18
	v_fmamk_f32 v34, v67, 0x3f4a47b2, v56
	v_fmamk_f32 v52, v75, 0xbeae86e6, v66
	v_fma_f32 v62, 0x3eae86e6, v65, -v68
	v_fma_f32 v32, 0xbf3bfb3b, v28, -v32
	;; [unrolled: 1-line block ×5, first 2 shown]
	v_mul_f32_e32 v29, 0x3f08b237, v74
	v_mul_f32_e32 v56, 0x3d64c772, v82
	;; [unrolled: 1-line block ×5, first 2 shown]
	v_add_f32_e32 v8, v8, v9
	v_mul_f32_e32 v9, 0xbf5ff5aa, v77
	v_mul_f32_e32 v68, 0xbf5ff5aa, v10
	v_fmac_f32_e32 v25, 0xbee1c552, v13
	v_fmamk_f32 v6, v6, 0xbf955555, v1
	v_fmamk_f32 v19, v19, 0xbf955555, v0
	v_fmac_f32_e32 v58, 0xbee1c552, v4
	v_fmac_f32_e32 v11, 0xbee1c552, v13
	;; [unrolled: 1-line block ×5, first 2 shown]
	v_fmamk_f32 v4, v26, 0xbf955555, v3
	v_fmamk_f32 v13, v64, 0xbf955555, v2
	global_store_dwordx2 v[104:105], v[2:3], off
	v_add_f32_e32 v3, v73, v61
	v_add_f32_e32 v2, v53, v24
	v_sub_f32_e32 v79, v81, v79
	v_add_f32_e32 v35, v35, v48
	v_mul_f32_e32 v48, 0x3f4a47b2, v76
	v_fmac_f32_e32 v27, 0xbee1c552, v7
	v_fmac_f32_e32 v52, 0xbee1c552, v20
	;; [unrolled: 1-line block ×4, first 2 shown]
	v_fmamk_f32 v26, v71, 0xbeae86e6, v29
	v_fmamk_f32 v64, v76, 0x3f4a47b2, v56
	;; [unrolled: 1-line block ×4, first 2 shown]
	v_fma_f32 v70, 0x3eae86e6, v71, -v9
	v_fma_f32 v65, 0xbf3bfb3b, v23, -v65
	;; [unrolled: 1-line block ×5, first 2 shown]
	v_add_f32_e32 v17, v17, v6
	v_add_f32_e32 v20, v22, v19
	v_add_f32_e32 v10, v14, v6
	v_add_f32_e32 v14, v16, v19
	v_add_f32_e32 v9, v5, v6
	v_add_f32_e32 v16, v18, v19
	v_add_f32_e32 v34, v34, v4
	v_add_f32_e32 v60, v60, v13
	v_add_f32_e32 v22, v32, v4
	v_add_f32_e32 v32, v59, v13
	v_add_f32_e32 v23, v28, v4
	v_add_f32_e32 v28, v21, v13
	v_fmamk_f32 v59, v61, 0xbf955555, v3
	v_fmamk_f32 v61, v24, 0xbf955555, v2
	v_fmac_f32_e32 v62, 0xbee1c552, v7
	v_fmac_f32_e32 v31, 0xbee1c552, v7
	v_fma_f32 v48, 0xbf3bfb3b, v79, -v48
	v_fma_f32 v56, 0x3f3bfb3b, v79, -v56
	;; [unrolled: 1-line block ×3, first 2 shown]
	v_fmac_f32_e32 v26, 0xbee1c552, v35
	v_fmac_f32_e32 v53, 0xbee1c552, v8
	;; [unrolled: 1-line block ×4, first 2 shown]
	global_store_dwordx2 v[104:105], v[2:3], off offset:504
	v_add_f32_e32 v3, v25, v17
	v_sub_f32_e32 v2, v20, v58
	v_sub_f32_e32 v7, v9, v12
	v_add_f32_e32 v6, v15, v16
	v_add_f32_e32 v9, v12, v9
	v_sub_f32_e32 v8, v16, v15
	v_sub_f32_e32 v13, v17, v25
	v_add_f32_e32 v12, v58, v20
	v_add_f32_e32 v15, v27, v34
	;; [unrolled: 1-line block ×3, first 2 shown]
	v_sub_f32_e32 v20, v28, v33
	v_sub_f32_e32 v25, v34, v27
	v_add_f32_e32 v24, v52, v60
	v_add_f32_e32 v27, v64, v59
	;; [unrolled: 1-line block ×3, first 2 shown]
	v_fmac_f32_e32 v70, 0xbee1c552, v35
	v_add_f32_e32 v5, v11, v10
	v_sub_f32_e32 v4, v14, v30
	v_sub_f32_e32 v11, v10, v11
	v_add_f32_e32 v10, v30, v14
	v_add_f32_e32 v17, v62, v22
	v_sub_f32_e32 v19, v23, v31
	v_add_f32_e32 v21, v31, v23
	v_sub_f32_e32 v23, v22, v62
	v_add_f32_e32 v22, v63, v32
	v_add_f32_e32 v30, v48, v59
	;; [unrolled: 1-line block ×3, first 2 shown]
	v_fmac_f32_e32 v29, 0xbee1c552, v35
	v_sub_f32_e32 v16, v32, v63
	v_add_f32_e32 v32, v56, v59
	v_add_f32_e32 v33, v66, v61
	v_sub_f32_e32 v14, v60, v52
	global_store_dwordx2 v[104:105], v[24:25], off offset:1728
	global_store_dwordx2 v[37:38], v[22:23], off offset:1408
	;; [unrolled: 1-line block ×6, first 2 shown]
	v_sub_f32_e32 v23, v27, v26
	v_add_f32_e32 v22, v53, v28
	v_sub_f32_e32 v21, v30, v70
	v_add_f32_e32 v20, v68, v31
	v_add_f32_e32 v19, v29, v32
	v_sub_f32_e32 v18, v33, v67
	v_sub_f32_e32 v25, v32, v29
	v_add_f32_e32 v24, v67, v33
	v_add_f32_e32 v17, v70, v30
	v_sub_f32_e32 v16, v31, v68
	v_add_f32_e32 v15, v26, v27
	v_sub_f32_e32 v14, v28, v53
	global_store_dwordx2 v[37:38], v[22:23], off offset:184
	global_store_dwordx2 v[37:38], v[20:21], off offset:1912
	;; [unrolled: 1-line block ×8, first 2 shown]
	v_add_co_u32 v0, vcc_lo, 0x1000, v106
	v_add_co_ci_u32_e32 v1, vcc_lo, 0, v107, vcc_lo
	v_add_co_u32 v12, vcc_lo, 0x1800, v106
	v_add_co_ci_u32_e32 v13, vcc_lo, 0, v107, vcc_lo
	;; [unrolled: 2-line block ×4, first 2 shown]
	global_store_dwordx2 v[0:1], v[10:11], off offset:368
	global_store_dwordx2 v[12:13], v[8:9], off offset:48
	;; [unrolled: 1-line block ×5, first 2 shown]
	s_and_b32 exec_lo, exec_lo, s0
	s_cbranch_execz .LBB0_18
; %bb.17:
	v_subrev_nc_u32_e32 v0, 27, v36
	v_cndmask_b32_e64 v0, v0, v108, s0
	v_mul_i32_i24_e32 v92, 6, v0
	v_lshlrev_b64 v[0:1], 3, v[92:93]
	v_add_co_u32 v8, vcc_lo, s8, v0
	v_add_co_ci_u32_e32 v9, vcc_lo, s9, v1, vcc_lo
	s_clause 0x2
	global_load_dwordx4 v[0:3], v[8:9], off offset:1712
	global_load_dwordx4 v[4:7], v[8:9], off offset:1728
	;; [unrolled: 1-line block ×3, first 2 shown]
	s_waitcnt vmcnt(2)
	v_mul_f32_e32 v12, v51, v1
	v_mul_f32_e32 v1, v45, v1
	;; [unrolled: 1-line block ×4, first 2 shown]
	s_waitcnt vmcnt(1)
	v_mul_f32_e32 v14, v57, v5
	v_mul_f32_e32 v5, v49, v5
	s_waitcnt vmcnt(0)
	v_mul_f32_e32 v16, v55, v9
	v_mul_f32_e32 v9, v47, v9
	;; [unrolled: 1-line block ×6, first 2 shown]
	v_fmac_f32_e32 v12, v45, v0
	v_fma_f32 v0, v51, v0, -v1
	v_fmac_f32_e32 v13, v41, v2
	v_fma_f32 v1, v43, v2, -v3
	v_fma_f32 v2, v57, v4, -v5
	v_fmac_f32_e32 v17, v109, v10
	v_fma_f32 v3, v42, v10, -v11
	v_fmac_f32_e32 v16, v47, v8
	;; [unrolled: 2-line block ×3, first 2 shown]
	v_fmac_f32_e32 v15, v46, v6
	v_fma_f32 v4, v54, v6, -v7
	v_add_f32_e32 v6, v12, v17
	v_add_f32_e32 v7, v0, v3
	v_sub_f32_e32 v0, v0, v3
	v_add_f32_e32 v3, v13, v16
	v_add_f32_e32 v9, v1, v5
	v_sub_f32_e32 v8, v12, v17
	v_sub_f32_e32 v10, v13, v16
	;; [unrolled: 1-line block ×3, first 2 shown]
	v_add_f32_e32 v5, v14, v15
	v_add_f32_e32 v11, v2, v4
	v_sub_f32_e32 v12, v15, v14
	v_sub_f32_e32 v2, v4, v2
	v_add_f32_e32 v4, v3, v6
	v_add_f32_e32 v13, v9, v7
	v_sub_f32_e32 v14, v3, v6
	v_sub_f32_e32 v15, v9, v7
	;; [unrolled: 1-line block ×6, first 2 shown]
	v_add_f32_e32 v16, v12, v10
	v_add_f32_e32 v17, v2, v1
	v_sub_f32_e32 v18, v12, v10
	v_sub_f32_e32 v19, v2, v1
	v_sub_f32_e32 v20, v1, v0
	v_add_f32_e32 v4, v5, v4
	v_add_f32_e32 v5, v11, v13
	v_sub_f32_e32 v10, v10, v8
	v_sub_f32_e32 v12, v8, v12
	;; [unrolled: 1-line block ×3, first 2 shown]
	v_add_f32_e32 v8, v16, v8
	v_add_f32_e32 v11, v17, v0
	v_mul_f32_e32 v6, 0x3f4a47b2, v6
	v_mul_f32_e32 v7, 0x3f4a47b2, v7
	;; [unrolled: 1-line block ×7, first 2 shown]
	v_add_f32_e32 v0, v44, v4
	v_add_f32_e32 v1, v50, v5
	v_mul_f32_e32 v19, 0xbf5ff5aa, v10
	v_fmamk_f32 v3, v3, 0x3d64c772, v6
	v_fmamk_f32 v9, v9, 0x3d64c772, v7
	v_fma_f32 v13, 0x3f3bfb3b, v14, -v13
	v_fma_f32 v16, 0x3f3bfb3b, v15, -v16
	;; [unrolled: 1-line block ×4, first 2 shown]
	v_fmamk_f32 v14, v12, 0xbeae86e6, v17
	v_fmamk_f32 v15, v2, 0xbeae86e6, v18
	v_fma_f32 v10, 0xbf5ff5aa, v10, -v17
	v_fma_f32 v17, 0xbf5ff5aa, v20, -v18
	;; [unrolled: 1-line block ×3, first 2 shown]
	v_fmamk_f32 v2, v4, 0xbf955555, v0
	v_fmamk_f32 v4, v5, 0xbf955555, v1
	v_fma_f32 v12, 0x3eae86e6, v12, -v19
	v_fmac_f32_e32 v14, 0xbee1c552, v8
	v_fmac_f32_e32 v15, 0xbee1c552, v11
	;; [unrolled: 1-line block ×4, first 2 shown]
	v_add_f32_e32 v11, v3, v2
	v_add_f32_e32 v19, v9, v4
	v_fmac_f32_e32 v10, 0xbee1c552, v8
	v_fmac_f32_e32 v12, 0xbee1c552, v8
	v_add_f32_e32 v8, v13, v2
	v_add_f32_e32 v9, v6, v2
	;; [unrolled: 1-line block ×4, first 2 shown]
	global_store_dwordx2 v[104:105], v[0:1], off offset:1512
	v_add_f32_e32 v0, v15, v11
	v_sub_f32_e32 v1, v19, v14
	v_add_f32_e32 v2, v18, v9
	v_sub_f32_e32 v3, v13, v12
	v_sub_f32_e32 v4, v8, v17
	v_add_f32_e32 v5, v10, v7
	v_add_f32_e32 v6, v17, v8
	v_sub_f32_e32 v7, v7, v10
	v_sub_f32_e32 v8, v9, v18
	v_add_f32_e32 v9, v12, v13
	v_sub_f32_e32 v10, v11, v15
	v_add_f32_e32 v11, v14, v19
	global_store_dwordx2 v[37:38], v[0:1], off offset:1192
	global_store_dwordx2 v[102:103], v[2:3], off offset:872
	;; [unrolled: 1-line block ×6, first 2 shown]
.LBB0_18:
	s_endpgm
	.section	.rodata,"a",@progbits
	.p2align	6, 0x0
	.amdhsa_kernel fft_rtc_back_len1512_factors_2_2_2_3_3_3_7_wgs_63_tpt_63_halfLds_sp_ip_CI_unitstride_sbrr_dirReg
		.amdhsa_group_segment_fixed_size 0
		.amdhsa_private_segment_fixed_size 0
		.amdhsa_kernarg_size 88
		.amdhsa_user_sgpr_count 6
		.amdhsa_user_sgpr_private_segment_buffer 1
		.amdhsa_user_sgpr_dispatch_ptr 0
		.amdhsa_user_sgpr_queue_ptr 0
		.amdhsa_user_sgpr_kernarg_segment_ptr 1
		.amdhsa_user_sgpr_dispatch_id 0
		.amdhsa_user_sgpr_flat_scratch_init 0
		.amdhsa_user_sgpr_private_segment_size 0
		.amdhsa_wavefront_size32 1
		.amdhsa_uses_dynamic_stack 0
		.amdhsa_system_sgpr_private_segment_wavefront_offset 0
		.amdhsa_system_sgpr_workgroup_id_x 1
		.amdhsa_system_sgpr_workgroup_id_y 0
		.amdhsa_system_sgpr_workgroup_id_z 0
		.amdhsa_system_sgpr_workgroup_info 0
		.amdhsa_system_vgpr_workitem_id 0
		.amdhsa_next_free_vgpr 117
		.amdhsa_next_free_sgpr 21
		.amdhsa_reserve_vcc 1
		.amdhsa_reserve_flat_scratch 0
		.amdhsa_float_round_mode_32 0
		.amdhsa_float_round_mode_16_64 0
		.amdhsa_float_denorm_mode_32 3
		.amdhsa_float_denorm_mode_16_64 3
		.amdhsa_dx10_clamp 1
		.amdhsa_ieee_mode 1
		.amdhsa_fp16_overflow 0
		.amdhsa_workgroup_processor_mode 1
		.amdhsa_memory_ordered 1
		.amdhsa_forward_progress 0
		.amdhsa_shared_vgpr_count 0
		.amdhsa_exception_fp_ieee_invalid_op 0
		.amdhsa_exception_fp_denorm_src 0
		.amdhsa_exception_fp_ieee_div_zero 0
		.amdhsa_exception_fp_ieee_overflow 0
		.amdhsa_exception_fp_ieee_underflow 0
		.amdhsa_exception_fp_ieee_inexact 0
		.amdhsa_exception_int_div_zero 0
	.end_amdhsa_kernel
	.text
.Lfunc_end0:
	.size	fft_rtc_back_len1512_factors_2_2_2_3_3_3_7_wgs_63_tpt_63_halfLds_sp_ip_CI_unitstride_sbrr_dirReg, .Lfunc_end0-fft_rtc_back_len1512_factors_2_2_2_3_3_3_7_wgs_63_tpt_63_halfLds_sp_ip_CI_unitstride_sbrr_dirReg
                                        ; -- End function
	.section	.AMDGPU.csdata,"",@progbits
; Kernel info:
; codeLenInByte = 14580
; NumSgprs: 23
; NumVgprs: 117
; ScratchSize: 0
; MemoryBound: 0
; FloatMode: 240
; IeeeMode: 1
; LDSByteSize: 0 bytes/workgroup (compile time only)
; SGPRBlocks: 2
; VGPRBlocks: 14
; NumSGPRsForWavesPerEU: 23
; NumVGPRsForWavesPerEU: 117
; Occupancy: 8
; WaveLimiterHint : 1
; COMPUTE_PGM_RSRC2:SCRATCH_EN: 0
; COMPUTE_PGM_RSRC2:USER_SGPR: 6
; COMPUTE_PGM_RSRC2:TRAP_HANDLER: 0
; COMPUTE_PGM_RSRC2:TGID_X_EN: 1
; COMPUTE_PGM_RSRC2:TGID_Y_EN: 0
; COMPUTE_PGM_RSRC2:TGID_Z_EN: 0
; COMPUTE_PGM_RSRC2:TIDIG_COMP_CNT: 0
	.text
	.p2alignl 6, 3214868480
	.fill 48, 4, 3214868480
	.type	__hip_cuid_6a329e83c3a8d472,@object ; @__hip_cuid_6a329e83c3a8d472
	.section	.bss,"aw",@nobits
	.globl	__hip_cuid_6a329e83c3a8d472
__hip_cuid_6a329e83c3a8d472:
	.byte	0                               ; 0x0
	.size	__hip_cuid_6a329e83c3a8d472, 1

	.ident	"AMD clang version 19.0.0git (https://github.com/RadeonOpenCompute/llvm-project roc-6.4.0 25133 c7fe45cf4b819c5991fe208aaa96edf142730f1d)"
	.section	".note.GNU-stack","",@progbits
	.addrsig
	.addrsig_sym __hip_cuid_6a329e83c3a8d472
	.amdgpu_metadata
---
amdhsa.kernels:
  - .args:
      - .actual_access:  read_only
        .address_space:  global
        .offset:         0
        .size:           8
        .value_kind:     global_buffer
      - .offset:         8
        .size:           8
        .value_kind:     by_value
      - .actual_access:  read_only
        .address_space:  global
        .offset:         16
        .size:           8
        .value_kind:     global_buffer
      - .actual_access:  read_only
        .address_space:  global
        .offset:         24
        .size:           8
        .value_kind:     global_buffer
      - .offset:         32
        .size:           8
        .value_kind:     by_value
      - .actual_access:  read_only
        .address_space:  global
        .offset:         40
        .size:           8
        .value_kind:     global_buffer
      - .actual_access:  read_only
        .address_space:  global
        .offset:         48
        .size:           8
        .value_kind:     global_buffer
      - .offset:         56
        .size:           4
        .value_kind:     by_value
      - .actual_access:  read_only
        .address_space:  global
        .offset:         64
        .size:           8
        .value_kind:     global_buffer
      - .actual_access:  read_only
        .address_space:  global
        .offset:         72
        .size:           8
        .value_kind:     global_buffer
      - .address_space:  global
        .offset:         80
        .size:           8
        .value_kind:     global_buffer
    .group_segment_fixed_size: 0
    .kernarg_segment_align: 8
    .kernarg_segment_size: 88
    .language:       OpenCL C
    .language_version:
      - 2
      - 0
    .max_flat_workgroup_size: 63
    .name:           fft_rtc_back_len1512_factors_2_2_2_3_3_3_7_wgs_63_tpt_63_halfLds_sp_ip_CI_unitstride_sbrr_dirReg
    .private_segment_fixed_size: 0
    .sgpr_count:     23
    .sgpr_spill_count: 0
    .symbol:         fft_rtc_back_len1512_factors_2_2_2_3_3_3_7_wgs_63_tpt_63_halfLds_sp_ip_CI_unitstride_sbrr_dirReg.kd
    .uniform_work_group_size: 1
    .uses_dynamic_stack: false
    .vgpr_count:     117
    .vgpr_spill_count: 0
    .wavefront_size: 32
    .workgroup_processor_mode: 1
amdhsa.target:   amdgcn-amd-amdhsa--gfx1030
amdhsa.version:
  - 1
  - 2
...

	.end_amdgpu_metadata
